;; amdgpu-corpus repo=ROCm/rocFFT kind=compiled arch=gfx906 opt=O3
	.text
	.amdgcn_target "amdgcn-amd-amdhsa--gfx906"
	.amdhsa_code_object_version 6
	.protected	fft_rtc_fwd_len1445_factors_17_5_17_wgs_85_tpt_85_halfLds_dp_op_CI_CI_unitstride_sbrr_dirReg ; -- Begin function fft_rtc_fwd_len1445_factors_17_5_17_wgs_85_tpt_85_halfLds_dp_op_CI_CI_unitstride_sbrr_dirReg
	.globl	fft_rtc_fwd_len1445_factors_17_5_17_wgs_85_tpt_85_halfLds_dp_op_CI_CI_unitstride_sbrr_dirReg
	.p2align	8
	.type	fft_rtc_fwd_len1445_factors_17_5_17_wgs_85_tpt_85_halfLds_dp_op_CI_CI_unitstride_sbrr_dirReg,@function
fft_rtc_fwd_len1445_factors_17_5_17_wgs_85_tpt_85_halfLds_dp_op_CI_CI_unitstride_sbrr_dirReg: ; @fft_rtc_fwd_len1445_factors_17_5_17_wgs_85_tpt_85_halfLds_dp_op_CI_CI_unitstride_sbrr_dirReg
; %bb.0:
	s_load_dwordx4 s[8:11], s[4:5], 0x58
	s_load_dwordx4 s[12:15], s[4:5], 0x0
	;; [unrolled: 1-line block ×3, first 2 shown]
	v_mul_u32_u24_e32 v1, 0x304, v0
	v_add_u32_sdwa v6, s6, v1 dst_sel:DWORD dst_unused:UNUSED_PAD src0_sel:DWORD src1_sel:WORD_1
	v_mov_b32_e32 v1, 0
	s_waitcnt lgkmcnt(0)
	v_cmp_lt_u64_e64 s[0:1], s[14:15], 2
	v_mov_b32_e32 v4, 0
	v_mov_b32_e32 v7, v1
	s_and_b64 vcc, exec, s[0:1]
	v_mov_b32_e32 v5, 0
	s_cbranch_vccnz .LBB0_8
; %bb.1:
	s_load_dwordx2 s[0:1], s[4:5], 0x10
	s_add_u32 s2, s18, 8
	s_addc_u32 s3, s19, 0
	s_add_u32 s6, s16, 8
	v_mov_b32_e32 v4, 0
	s_addc_u32 s7, s17, 0
	v_mov_b32_e32 v5, 0
	s_waitcnt lgkmcnt(0)
	s_add_u32 s20, s0, 8
	v_mov_b32_e32 v97, v5
	s_addc_u32 s21, s1, 0
	s_mov_b64 s[22:23], 1
	v_mov_b32_e32 v96, v4
.LBB0_2:                                ; =>This Inner Loop Header: Depth=1
	s_load_dwordx2 s[24:25], s[20:21], 0x0
                                        ; implicit-def: $vgpr100_vgpr101
	s_waitcnt lgkmcnt(0)
	v_or_b32_e32 v2, s25, v7
	v_cmp_ne_u64_e32 vcc, 0, v[1:2]
	s_and_saveexec_b64 s[0:1], vcc
	s_xor_b64 s[26:27], exec, s[0:1]
	s_cbranch_execz .LBB0_4
; %bb.3:                                ;   in Loop: Header=BB0_2 Depth=1
	v_cvt_f32_u32_e32 v2, s24
	v_cvt_f32_u32_e32 v3, s25
	s_sub_u32 s0, 0, s24
	s_subb_u32 s1, 0, s25
	v_mac_f32_e32 v2, 0x4f800000, v3
	v_rcp_f32_e32 v2, v2
	v_mul_f32_e32 v2, 0x5f7ffffc, v2
	v_mul_f32_e32 v3, 0x2f800000, v2
	v_trunc_f32_e32 v3, v3
	v_mac_f32_e32 v2, 0xcf800000, v3
	v_cvt_u32_f32_e32 v3, v3
	v_cvt_u32_f32_e32 v2, v2
	v_mul_lo_u32 v8, s0, v3
	v_mul_hi_u32 v9, s0, v2
	v_mul_lo_u32 v11, s1, v2
	v_mul_lo_u32 v10, s0, v2
	v_add_u32_e32 v8, v9, v8
	v_add_u32_e32 v8, v8, v11
	v_mul_hi_u32 v9, v2, v10
	v_mul_lo_u32 v11, v2, v8
	v_mul_hi_u32 v13, v2, v8
	v_mul_hi_u32 v12, v3, v10
	v_mul_lo_u32 v10, v3, v10
	v_mul_hi_u32 v14, v3, v8
	v_add_co_u32_e32 v9, vcc, v9, v11
	v_addc_co_u32_e32 v11, vcc, 0, v13, vcc
	v_mul_lo_u32 v8, v3, v8
	v_add_co_u32_e32 v9, vcc, v9, v10
	v_addc_co_u32_e32 v9, vcc, v11, v12, vcc
	v_addc_co_u32_e32 v10, vcc, 0, v14, vcc
	v_add_co_u32_e32 v8, vcc, v9, v8
	v_addc_co_u32_e32 v9, vcc, 0, v10, vcc
	v_add_co_u32_e32 v2, vcc, v2, v8
	v_addc_co_u32_e32 v3, vcc, v3, v9, vcc
	v_mul_lo_u32 v8, s0, v3
	v_mul_hi_u32 v9, s0, v2
	v_mul_lo_u32 v10, s1, v2
	v_mul_lo_u32 v11, s0, v2
	v_add_u32_e32 v8, v9, v8
	v_add_u32_e32 v8, v8, v10
	v_mul_lo_u32 v12, v2, v8
	v_mul_hi_u32 v13, v2, v11
	v_mul_hi_u32 v14, v2, v8
	v_mul_hi_u32 v10, v3, v11
	v_mul_lo_u32 v11, v3, v11
	v_mul_hi_u32 v9, v3, v8
	v_add_co_u32_e32 v12, vcc, v13, v12
	v_addc_co_u32_e32 v13, vcc, 0, v14, vcc
	v_mul_lo_u32 v8, v3, v8
	v_add_co_u32_e32 v11, vcc, v12, v11
	v_addc_co_u32_e32 v10, vcc, v13, v10, vcc
	v_addc_co_u32_e32 v9, vcc, 0, v9, vcc
	v_add_co_u32_e32 v8, vcc, v10, v8
	v_addc_co_u32_e32 v9, vcc, 0, v9, vcc
	v_add_co_u32_e32 v8, vcc, v2, v8
	v_addc_co_u32_e32 v9, vcc, v3, v9, vcc
	v_mad_u64_u32 v[2:3], s[0:1], v6, v9, 0
	v_mul_hi_u32 v10, v6, v8
	v_add_co_u32_e32 v10, vcc, v10, v2
	v_addc_co_u32_e32 v11, vcc, 0, v3, vcc
	v_mad_u64_u32 v[2:3], s[0:1], v7, v8, 0
	v_mad_u64_u32 v[8:9], s[0:1], v7, v9, 0
	v_add_co_u32_e32 v2, vcc, v10, v2
	v_addc_co_u32_e32 v2, vcc, v11, v3, vcc
	v_addc_co_u32_e32 v3, vcc, 0, v9, vcc
	v_add_co_u32_e32 v8, vcc, v2, v8
	v_addc_co_u32_e32 v9, vcc, 0, v3, vcc
	v_mul_lo_u32 v10, s25, v8
	v_mul_lo_u32 v11, s24, v9
	v_mad_u64_u32 v[2:3], s[0:1], s24, v8, 0
	v_add3_u32 v3, v3, v11, v10
	v_sub_u32_e32 v10, v7, v3
	v_mov_b32_e32 v11, s25
	v_sub_co_u32_e32 v2, vcc, v6, v2
	v_subb_co_u32_e64 v10, s[0:1], v10, v11, vcc
	v_subrev_co_u32_e64 v11, s[0:1], s24, v2
	v_subbrev_co_u32_e64 v10, s[0:1], 0, v10, s[0:1]
	v_cmp_le_u32_e64 s[0:1], s25, v10
	v_cndmask_b32_e64 v12, 0, -1, s[0:1]
	v_cmp_le_u32_e64 s[0:1], s24, v11
	v_cndmask_b32_e64 v11, 0, -1, s[0:1]
	v_cmp_eq_u32_e64 s[0:1], s25, v10
	v_cndmask_b32_e64 v10, v12, v11, s[0:1]
	v_add_co_u32_e64 v11, s[0:1], 2, v8
	v_addc_co_u32_e64 v12, s[0:1], 0, v9, s[0:1]
	v_add_co_u32_e64 v13, s[0:1], 1, v8
	v_addc_co_u32_e64 v14, s[0:1], 0, v9, s[0:1]
	v_subb_co_u32_e32 v3, vcc, v7, v3, vcc
	v_cmp_ne_u32_e64 s[0:1], 0, v10
	v_cmp_le_u32_e32 vcc, s25, v3
	v_cndmask_b32_e64 v10, v14, v12, s[0:1]
	v_cndmask_b32_e64 v12, 0, -1, vcc
	v_cmp_le_u32_e32 vcc, s24, v2
	v_cndmask_b32_e64 v2, 0, -1, vcc
	v_cmp_eq_u32_e32 vcc, s25, v3
	v_cndmask_b32_e32 v2, v12, v2, vcc
	v_cmp_ne_u32_e32 vcc, 0, v2
	v_cndmask_b32_e64 v2, v13, v11, s[0:1]
	v_cndmask_b32_e32 v101, v9, v10, vcc
	v_cndmask_b32_e32 v100, v8, v2, vcc
.LBB0_4:                                ;   in Loop: Header=BB0_2 Depth=1
	s_andn2_saveexec_b64 s[0:1], s[26:27]
	s_cbranch_execz .LBB0_6
; %bb.5:                                ;   in Loop: Header=BB0_2 Depth=1
	v_cvt_f32_u32_e32 v2, s24
	s_sub_i32 s26, 0, s24
	v_mov_b32_e32 v101, v1
	v_rcp_iflag_f32_e32 v2, v2
	v_mul_f32_e32 v2, 0x4f7ffffe, v2
	v_cvt_u32_f32_e32 v2, v2
	v_mul_lo_u32 v3, s26, v2
	v_mul_hi_u32 v3, v2, v3
	v_add_u32_e32 v2, v2, v3
	v_mul_hi_u32 v2, v6, v2
	v_mul_lo_u32 v3, v2, s24
	v_add_u32_e32 v8, 1, v2
	v_sub_u32_e32 v3, v6, v3
	v_subrev_u32_e32 v9, s24, v3
	v_cmp_le_u32_e32 vcc, s24, v3
	v_cndmask_b32_e32 v3, v3, v9, vcc
	v_cndmask_b32_e32 v2, v2, v8, vcc
	v_add_u32_e32 v8, 1, v2
	v_cmp_le_u32_e32 vcc, s24, v3
	v_cndmask_b32_e32 v100, v2, v8, vcc
.LBB0_6:                                ;   in Loop: Header=BB0_2 Depth=1
	s_or_b64 exec, exec, s[0:1]
	v_mul_lo_u32 v8, v101, s24
	v_mul_lo_u32 v9, v100, s25
	v_mad_u64_u32 v[2:3], s[0:1], v100, s24, 0
	s_load_dwordx2 s[0:1], s[6:7], 0x0
	s_load_dwordx2 s[24:25], s[2:3], 0x0
	v_add3_u32 v3, v3, v9, v8
	v_sub_co_u32_e32 v2, vcc, v6, v2
	v_subb_co_u32_e32 v3, vcc, v7, v3, vcc
	s_waitcnt lgkmcnt(0)
	v_mul_lo_u32 v6, s0, v3
	v_mul_lo_u32 v7, s1, v2
	v_mad_u64_u32 v[4:5], s[0:1], s0, v2, v[4:5]
	v_mul_lo_u32 v3, s24, v3
	v_mul_lo_u32 v8, s25, v2
	v_mad_u64_u32 v[96:97], s[0:1], s24, v2, v[96:97]
	s_add_u32 s22, s22, 1
	s_addc_u32 s23, s23, 0
	s_add_u32 s2, s2, 8
	v_add3_u32 v97, v8, v97, v3
	s_addc_u32 s3, s3, 0
	v_mov_b32_e32 v2, s14
	s_add_u32 s6, s6, 8
	v_mov_b32_e32 v3, s15
	s_addc_u32 s7, s7, 0
	v_cmp_ge_u64_e32 vcc, s[22:23], v[2:3]
	s_add_u32 s20, s20, 8
	v_add3_u32 v5, v7, v5, v6
	s_addc_u32 s21, s21, 0
	s_cbranch_vccnz .LBB0_9
; %bb.7:                                ;   in Loop: Header=BB0_2 Depth=1
	v_mov_b32_e32 v6, v100
	v_mov_b32_e32 v7, v101
	s_branch .LBB0_2
.LBB0_8:
	v_mov_b32_e32 v97, v5
	v_mov_b32_e32 v101, v7
	;; [unrolled: 1-line block ×4, first 2 shown]
.LBB0_9:
	s_load_dwordx2 s[4:5], s[4:5], 0x28
	s_lshl_b64 s[6:7], s[14:15], 3
	s_add_u32 s2, s18, s6
	s_addc_u32 s3, s19, s7
                                        ; implicit-def: $sgpr14_sgpr15
                                        ; implicit-def: $vgpr102
	s_waitcnt lgkmcnt(0)
	v_cmp_gt_u64_e64 s[0:1], s[4:5], v[100:101]
	v_cmp_le_u64_e32 vcc, s[4:5], v[100:101]
	s_and_saveexec_b64 s[4:5], vcc
	s_xor_b64 s[4:5], exec, s[4:5]
; %bb.10:
	s_mov_b32 s14, 0x3030304
	v_mul_hi_u32 v1, v0, s14
	s_mov_b64 s[14:15], 0
                                        ; implicit-def: $vgpr4_vgpr5
	v_mul_u32_u24_e32 v1, 0x55, v1
	v_sub_u32_e32 v102, v0, v1
                                        ; implicit-def: $vgpr0
; %bb.11:
	s_or_saveexec_b64 s[4:5], s[4:5]
	v_mov_b32_e32 v99, s15
	v_mov_b32_e32 v98, s14
                                        ; implicit-def: $vgpr46_vgpr47
                                        ; implicit-def: $vgpr50_vgpr51
                                        ; implicit-def: $vgpr54_vgpr55
                                        ; implicit-def: $vgpr42_vgpr43
                                        ; implicit-def: $vgpr38_vgpr39
                                        ; implicit-def: $vgpr26_vgpr27
                                        ; implicit-def: $vgpr14_vgpr15
                                        ; implicit-def: $vgpr6_vgpr7
                                        ; implicit-def: $vgpr2_vgpr3
                                        ; implicit-def: $vgpr10_vgpr11
                                        ; implicit-def: $vgpr22_vgpr23
                                        ; implicit-def: $vgpr18_vgpr19
                                        ; implicit-def: $vgpr30_vgpr31
                                        ; implicit-def: $vgpr58_vgpr59
                                        ; implicit-def: $vgpr62_vgpr63
                                        ; implicit-def: $vgpr66_vgpr67
                                        ; implicit-def: $vgpr34_vgpr35
	s_xor_b64 exec, exec, s[4:5]
	s_cbranch_execz .LBB0_13
; %bb.12:
	s_add_u32 s6, s16, s6
	s_addc_u32 s7, s17, s7
	s_load_dwordx2 s[6:7], s[6:7], 0x0
	s_mov_b32 s14, 0x3030304
	v_mul_hi_u32 v3, v0, s14
	v_mov_b32_e32 v103, 0
	s_waitcnt lgkmcnt(0)
	v_mul_lo_u32 v6, s7, v100
	v_mul_lo_u32 v7, s6, v101
	v_mad_u64_u32 v[1:2], s[6:7], s6, v100, 0
	v_mul_u32_u24_e32 v3, 0x55, v3
	v_sub_u32_e32 v102, v0, v3
	v_add3_u32 v2, v2, v7, v6
	v_lshlrev_b64 v[0:1], 4, v[1:2]
	v_mov_b32_e32 v2, s9
	v_add_co_u32_e32 v3, vcc, s8, v0
	v_addc_co_u32_e32 v2, vcc, v2, v1, vcc
	v_lshlrev_b64 v[0:1], 4, v[4:5]
	s_movk_i32 s6, 0x1000
	v_add_co_u32_e32 v0, vcc, v3, v0
	v_addc_co_u32_e32 v1, vcc, v2, v1, vcc
	v_lshlrev_b32_e32 v2, 4, v102
	v_add_co_u32_e32 v0, vcc, v0, v2
	v_addc_co_u32_e32 v1, vcc, 0, v1, vcc
	v_add_co_u32_e32 v68, vcc, s6, v0
	v_addc_co_u32_e32 v69, vcc, 0, v1, vcc
	s_movk_i32 s6, 0x2000
	v_add_co_u32_e32 v70, vcc, s6, v0
	v_addc_co_u32_e32 v71, vcc, 0, v1, vcc
	s_movk_i32 s6, 0x3000
	;; [unrolled: 3-line block ×3, first 2 shown]
	v_add_co_u32_e32 v74, vcc, s6, v0
	v_addc_co_u32_e32 v75, vcc, 0, v1, vcc
	v_add_co_u32_e32 v76, vcc, 0x5000, v0
	global_load_dwordx4 v[32:35], v[0:1], off
	global_load_dwordx4 v[64:67], v[0:1], off offset:1360
	global_load_dwordx4 v[60:63], v[0:1], off offset:2720
	;; [unrolled: 1-line block ×5, first 2 shown]
	v_addc_co_u32_e32 v77, vcc, 0, v1, vcc
	global_load_dwordx4 v[20:23], v[68:69], off offset:4064
	global_load_dwordx4 v[8:11], v[70:71], off offset:1328
	;; [unrolled: 1-line block ×11, first 2 shown]
	v_mov_b32_e32 v98, v102
	v_mov_b32_e32 v99, v103
.LBB0_13:
	s_or_b64 exec, exec, s[4:5]
	s_waitcnt vmcnt(0)
	v_add_f64 v[70:71], v[44:45], v[64:65]
	s_mov_b32 s16, 0x370991
	s_mov_b32 s20, 0x75d4884
	;; [unrolled: 1-line block ×4, first 2 shown]
	v_add_f64 v[72:73], v[66:67], -v[46:47]
	v_add_f64 v[74:75], v[48:49], v[60:61]
	s_mov_b32 s28, 0x5d8e7cdc
	v_mul_f64 v[78:79], v[70:71], s[16:17]
	v_mul_f64 v[80:81], v[70:71], s[20:21]
	s_mov_b32 s26, 0x2a9d6da3
	s_mov_b32 s4, 0x2b2883cd
	;; [unrolled: 1-line block ×19, first 2 shown]
	v_add_f64 v[76:77], v[62:63], -v[50:51]
	v_mul_f64 v[82:83], v[70:71], s[4:5]
	v_mul_f64 v[84:85], v[70:71], s[6:7]
	;; [unrolled: 1-line block ×8, first 2 shown]
	v_fma_f64 v[109:110], v[72:73], s[28:29], v[78:79]
	v_fma_f64 v[78:79], v[72:73], s[40:41], v[78:79]
	;; [unrolled: 1-line block ×4, first 2 shown]
	s_mov_b32 s18, 0x7c9e640b
	s_mov_b32 s8, 0xeb564b22
	;; [unrolled: 1-line block ×24, first 2 shown]
	v_mul_f64 v[103:104], v[74:75], s[22:23]
	v_mul_f64 v[105:106], v[74:75], s[38:39]
	v_mul_f64 v[107:108], v[74:75], s[34:35]
	v_fma_f64 v[113:114], v[72:73], s[18:19], v[82:83]
	v_fma_f64 v[82:83], v[72:73], s[52:53], v[82:83]
	;; [unrolled: 1-line block ×16, first 2 shown]
	v_add_f64 v[109:110], v[32:33], v[109:110]
	v_add_f64 v[78:79], v[32:33], v[78:79]
	v_add_f64 v[80:81], v[32:33], v[80:81]
	v_add_f64 v[68:69], v[64:65], v[32:33]
	v_fma_f64 v[127:128], v[76:77], s[46:47], v[103:104]
	v_fma_f64 v[103:104], v[76:77], s[30:31], v[103:104]
	v_add_f64 v[111:112], v[32:33], v[111:112]
	v_add_f64 v[113:114], v[32:33], v[113:114]
	v_add_f64 v[82:83], v[32:33], v[82:83]
	v_add_f64 v[115:116], v[32:33], v[115:116]
	v_add_f64 v[84:85], v[32:33], v[84:85]
	v_add_f64 v[117:118], v[32:33], v[117:118]
	v_add_f64 v[86:87], v[32:33], v[86:87]
	v_add_f64 v[119:120], v[32:33], v[119:120]
	v_add_f64 v[88:89], v[32:33], v[88:89]
	v_add_f64 v[121:122], v[32:33], v[121:122]
	v_add_f64 v[90:91], v[32:33], v[90:91]
	v_add_f64 v[123:124], v[32:33], v[123:124]
	v_add_f64 v[32:33], v[32:33], v[70:71]
	v_add_f64 v[70:71], v[72:73], v[109:110]
	v_add_f64 v[72:73], v[92:93], v[78:79]
	v_fma_f64 v[92:93], v[76:77], s[56:57], v[105:106]
	v_add_f64 v[80:81], v[94:95], v[80:81]
	v_fma_f64 v[94:95], v[76:77], s[42:43], v[105:106]
	v_fma_f64 v[105:106], v[76:77], s[36:37], v[107:108]
	v_add_f64 v[78:79], v[125:126], v[111:112]
	v_add_f64 v[82:83], v[103:104], v[82:83]
	v_mul_f64 v[103:104], v[74:75], s[14:15]
	v_fma_f64 v[107:108], v[76:77], s[54:55], v[107:108]
	v_mul_f64 v[111:112], v[74:75], s[4:5]
	v_add_f64 v[109:110], v[127:128], v[113:114]
	v_add_f64 v[84:85], v[94:95], v[84:85]
	;; [unrolled: 1-line block ×5, first 2 shown]
	v_mul_f64 v[74:75], v[74:75], s[16:17]
	v_fma_f64 v[113:114], v[76:77], s[24:25], v[103:104]
	v_add_f64 v[86:87], v[107:108], v[86:87]
	v_fma_f64 v[103:104], v[76:77], s[50:51], v[103:104]
	v_fma_f64 v[107:108], v[76:77], s[52:53], v[111:112]
	v_add_f64 v[115:116], v[58:59], -v[54:55]
	v_mul_f64 v[117:118], v[105:106], s[4:5]
	v_fma_f64 v[111:112], v[76:77], s[18:19], v[111:112]
	v_fma_f64 v[125:126], v[76:77], s[40:41], v[74:75]
	;; [unrolled: 1-line block ×3, first 2 shown]
	v_add_f64 v[113:114], v[113:114], v[119:120]
	v_add_f64 v[76:77], v[103:104], v[88:89]
	v_mul_f64 v[88:89], v[105:106], s[22:23]
	v_add_f64 v[103:104], v[107:108], v[121:122]
	v_fma_f64 v[107:108], v[115:116], s[18:19], v[117:118]
	v_mul_f64 v[119:120], v[105:106], s[38:39]
	v_mul_f64 v[121:122], v[105:106], s[14:15]
	v_add_f64 v[32:33], v[74:75], v[32:33]
	v_fma_f64 v[74:75], v[115:116], s[52:53], v[117:118]
	v_add_f64 v[90:91], v[111:112], v[90:91]
	v_fma_f64 v[117:118], v[115:116], s[46:47], v[88:89]
	v_fma_f64 v[88:89], v[115:116], s[30:31], v[88:89]
	v_add_f64 v[70:71], v[107:108], v[70:71]
	v_mul_f64 v[107:108], v[105:106], s[20:21]
	v_add_f64 v[111:112], v[125:126], v[123:124]
	v_fma_f64 v[123:124], v[115:116], s[42:43], v[119:120]
	v_fma_f64 v[119:120], v[115:116], s[56:57], v[119:120]
	v_add_f64 v[72:73], v[74:75], v[72:73]
	v_add_f64 v[74:75], v[117:118], v[78:79]
	v_fma_f64 v[78:79], v[115:116], s[24:25], v[121:122]
	v_add_f64 v[80:81], v[88:89], v[80:81]
	v_fma_f64 v[88:89], v[115:116], s[50:51], v[121:122]
	v_fma_f64 v[117:118], v[115:116], s[48:49], v[107:108]
	;; [unrolled: 1-line block ×3, first 2 shown]
	v_add_f64 v[82:83], v[119:120], v[82:83]
	v_mul_f64 v[119:120], v[105:106], s[16:17]
	v_add_f64 v[109:110], v[123:124], v[109:110]
	v_add_f64 v[78:79], v[78:79], v[92:93]
	v_mul_f64 v[92:93], v[105:106], s[6:7]
	v_add_f64 v[84:85], v[88:89], v[84:85]
	v_add_f64 v[88:89], v[117:118], v[94:95]
	v_add_f64 v[94:95], v[40:41], v[28:29]
	v_mul_f64 v[105:106], v[105:106], s[34:35]
	v_add_f64 v[86:87], v[107:108], v[86:87]
	v_fma_f64 v[107:108], v[115:116], s[40:41], v[119:120]
	v_fma_f64 v[117:118], v[115:116], s[28:29], v[119:120]
	;; [unrolled: 1-line block ×4, first 2 shown]
	v_add_f64 v[121:122], v[30:31], -v[42:43]
	v_mul_f64 v[123:124], v[94:95], s[6:7]
	v_fma_f64 v[125:126], v[115:116], s[54:55], v[105:106]
	v_fma_f64 v[105:106], v[115:116], s[36:37], v[105:106]
	v_add_f64 v[76:77], v[107:108], v[76:77]
	v_mul_f64 v[107:108], v[94:95], s[38:39]
	v_mul_f64 v[115:116], v[94:95], s[14:15]
	v_add_f64 v[90:91], v[92:93], v[90:91]
	v_add_f64 v[113:114], v[117:118], v[113:114]
	v_fma_f64 v[92:93], v[121:122], s[8:9], v[123:124]
	v_add_f64 v[103:104], v[119:120], v[103:104]
	v_add_f64 v[32:33], v[105:106], v[32:33]
	v_fma_f64 v[105:106], v[121:122], s[44:45], v[123:124]
	v_fma_f64 v[117:118], v[121:122], s[56:57], v[107:108]
	v_mul_f64 v[119:120], v[94:95], s[16:17]
	v_fma_f64 v[107:108], v[121:122], s[42:43], v[107:108]
	v_fma_f64 v[123:124], v[121:122], s[24:25], v[115:116]
	v_add_f64 v[70:71], v[92:93], v[70:71]
	v_mul_f64 v[92:93], v[94:95], s[4:5]
	v_fma_f64 v[115:116], v[121:122], s[50:51], v[115:116]
	v_add_f64 v[72:73], v[105:106], v[72:73]
	v_add_f64 v[74:75], v[117:118], v[74:75]
	v_fma_f64 v[105:106], v[121:122], s[40:41], v[119:120]
	v_add_f64 v[80:81], v[107:108], v[80:81]
	v_fma_f64 v[107:108], v[121:122], s[28:29], v[119:120]
	;; [unrolled: 2-line block ×3, first 2 shown]
	v_add_f64 v[82:83], v[115:116], v[82:83]
	v_mul_f64 v[115:116], v[94:95], s[34:35]
	v_fma_f64 v[92:93], v[121:122], s[52:53], v[92:93]
	v_add_f64 v[78:79], v[105:106], v[78:79]
	v_mul_f64 v[105:106], v[94:95], s[22:23]
	v_add_f64 v[84:85], v[107:108], v[84:85]
	v_add_f64 v[107:108], v[36:37], v[16:17]
	v_mul_f64 v[94:95], v[94:95], s[20:21]
	v_add_f64 v[88:89], v[117:118], v[88:89]
	v_fma_f64 v[117:118], v[121:122], s[54:55], v[115:116]
	v_add_f64 v[86:87], v[92:93], v[86:87]
	v_fma_f64 v[92:93], v[121:122], s[36:37], v[115:116]
	v_fma_f64 v[115:116], v[121:122], s[30:31], v[105:106]
	;; [unrolled: 1-line block ×3, first 2 shown]
	v_add_f64 v[119:120], v[18:19], -v[38:39]
	v_mul_f64 v[123:124], v[107:108], s[14:15]
	v_add_f64 v[111:112], v[125:126], v[111:112]
	v_fma_f64 v[125:126], v[121:122], s[48:49], v[94:95]
	v_fma_f64 v[94:95], v[121:122], s[26:27], v[94:95]
	v_add_f64 v[76:77], v[92:93], v[76:77]
	v_mul_f64 v[92:93], v[107:108], s[34:35]
	v_add_f64 v[103:104], v[115:116], v[103:104]
	v_add_f64 v[90:91], v[105:106], v[90:91]
	v_fma_f64 v[105:106], v[119:120], s[50:51], v[123:124]
	v_mul_f64 v[115:116], v[107:108], s[20:21]
	v_add_f64 v[113:114], v[117:118], v[113:114]
	v_add_f64 v[32:33], v[94:95], v[32:33]
	v_fma_f64 v[94:95], v[119:120], s[24:25], v[123:124]
	v_fma_f64 v[117:118], v[119:120], s[36:37], v[92:93]
	v_mul_f64 v[121:122], v[107:108], s[4:5]
	v_fma_f64 v[92:93], v[119:120], s[54:55], v[92:93]
	v_add_f64 v[70:71], v[105:106], v[70:71]
	v_mul_f64 v[105:106], v[107:108], s[38:39]
	v_fma_f64 v[123:124], v[119:120], s[48:49], v[115:116]
	v_fma_f64 v[115:116], v[119:120], s[26:27], v[115:116]
	v_add_f64 v[72:73], v[94:95], v[72:73]
	v_add_f64 v[74:75], v[117:118], v[74:75]
	v_fma_f64 v[94:95], v[119:120], s[18:19], v[121:122]
	v_add_f64 v[80:81], v[92:93], v[80:81]
	v_fma_f64 v[92:93], v[119:120], s[52:53], v[121:122]
	v_fma_f64 v[117:118], v[119:120], s[56:57], v[105:106]
	;; [unrolled: 1-line block ×3, first 2 shown]
	v_add_f64 v[82:83], v[115:116], v[82:83]
	v_mul_f64 v[115:116], v[107:108], s[6:7]
	v_add_f64 v[68:69], v[60:61], v[68:69]
	v_add_f64 v[78:79], v[94:95], v[78:79]
	v_mul_f64 v[94:95], v[107:108], s[16:17]
	v_add_f64 v[84:85], v[92:93], v[84:85]
	v_add_f64 v[92:93], v[24:25], v[20:21]
	v_mul_f64 v[107:108], v[107:108], s[22:23]
	v_add_f64 v[86:87], v[105:106], v[86:87]
	v_fma_f64 v[105:106], v[119:120], s[8:9], v[115:116]
	v_add_f64 v[68:69], v[56:57], v[68:69]
	v_add_f64 v[111:112], v[125:126], v[111:112]
	;; [unrolled: 1-line block ×4, first 2 shown]
	v_fma_f64 v[117:118], v[119:120], s[44:45], v[115:116]
	v_fma_f64 v[115:116], v[119:120], s[28:29], v[94:95]
	;; [unrolled: 1-line block ×3, first 2 shown]
	v_add_f64 v[121:122], v[22:23], -v[26:27]
	v_mul_f64 v[123:124], v[92:93], s[22:23]
	v_fma_f64 v[125:126], v[119:120], s[46:47], v[107:108]
	v_fma_f64 v[107:108], v[119:120], s[30:31], v[107:108]
	v_add_f64 v[76:77], v[105:106], v[76:77]
	v_mul_f64 v[105:106], v[92:93], s[14:15]
	v_add_f64 v[68:69], v[28:29], v[68:69]
	v_add_f64 v[113:114], v[117:118], v[113:114]
	;; [unrolled: 1-line block ×3, first 2 shown]
	v_fma_f64 v[94:95], v[121:122], s[46:47], v[123:124]
	v_mul_f64 v[117:118], v[92:93], s[34:35]
	v_add_f64 v[32:33], v[107:108], v[32:33]
	v_fma_f64 v[107:108], v[121:122], s[30:31], v[123:124]
	v_add_f64 v[103:104], v[115:116], v[103:104]
	v_mul_f64 v[115:116], v[92:93], s[16:17]
	v_fma_f64 v[119:120], v[121:122], s[24:25], v[105:106]
	v_fma_f64 v[105:106], v[121:122], s[50:51], v[105:106]
	v_add_f64 v[68:69], v[16:17], v[68:69]
	v_add_f64 v[70:71], v[94:95], v[70:71]
	v_mul_f64 v[94:95], v[92:93], s[6:7]
	v_add_f64 v[72:73], v[107:108], v[72:73]
	v_fma_f64 v[107:108], v[121:122], s[54:55], v[117:118]
	v_fma_f64 v[123:124], v[121:122], s[28:29], v[115:116]
	;; [unrolled: 1-line block ×3, first 2 shown]
	v_add_f64 v[80:81], v[105:106], v[80:81]
	v_fma_f64 v[105:106], v[121:122], s[36:37], v[117:118]
	v_add_f64 v[68:69], v[20:21], v[68:69]
	v_fma_f64 v[117:118], v[121:122], s[44:45], v[94:95]
	v_fma_f64 v[94:95], v[121:122], s[8:9], v[94:95]
	v_add_f64 v[78:79], v[107:108], v[78:79]
	v_mul_f64 v[107:108], v[92:93], s[38:39]
	v_add_f64 v[82:83], v[115:116], v[82:83]
	v_mul_f64 v[115:116], v[92:93], s[20:21]
	v_add_f64 v[84:85], v[105:106], v[84:85]
	v_add_f64 v[105:106], v[12:13], v[8:9]
	v_mul_f64 v[92:93], v[92:93], s[4:5]
	v_add_f64 v[68:69], v[8:9], v[68:69]
	v_add_f64 v[86:87], v[94:95], v[86:87]
	v_fma_f64 v[94:95], v[121:122], s[56:57], v[107:108]
	v_add_f64 v[111:112], v[125:126], v[111:112]
	v_add_f64 v[74:75], v[119:120], v[74:75]
	;; [unrolled: 1-line block ×4, first 2 shown]
	v_fma_f64 v[117:118], v[121:122], s[26:27], v[115:116]
	v_fma_f64 v[115:116], v[121:122], s[48:49], v[115:116]
	;; [unrolled: 1-line block ×3, first 2 shown]
	v_add_f64 v[119:120], v[10:11], -v[14:15]
	v_mul_f64 v[123:124], v[105:106], s[34:35]
	v_fma_f64 v[125:126], v[121:122], s[52:53], v[92:93]
	v_fma_f64 v[92:93], v[121:122], s[18:19], v[92:93]
	v_add_f64 v[68:69], v[0:1], v[68:69]
	v_add_f64 v[94:95], v[94:95], v[103:104]
	v_mul_f64 v[103:104], v[105:106], s[4:5]
	v_add_f64 v[113:114], v[117:118], v[113:114]
	v_add_f64 v[76:77], v[115:116], v[76:77]
	;; [unrolled: 1-line block ×3, first 2 shown]
	v_fma_f64 v[107:108], v[119:120], s[54:55], v[123:124]
	v_mul_f64 v[115:116], v[105:106], s[6:7]
	v_fma_f64 v[117:118], v[119:120], s[36:37], v[123:124]
	v_add_f64 v[32:33], v[92:93], v[32:33]
	v_mul_f64 v[92:93], v[105:106], s[22:23]
	v_add_f64 v[68:69], v[4:5], v[68:69]
	v_fma_f64 v[121:122], v[119:120], s[52:53], v[103:104]
	v_fma_f64 v[103:104], v[119:120], s[18:19], v[103:104]
	v_add_f64 v[70:71], v[107:108], v[70:71]
	v_mul_f64 v[107:108], v[105:106], s[16:17]
	v_fma_f64 v[123:124], v[119:120], s[8:9], v[115:116]
	v_add_f64 v[72:73], v[117:118], v[72:73]
	v_fma_f64 v[115:116], v[119:120], s[44:45], v[115:116]
	v_fma_f64 v[117:118], v[119:120], s[30:31], v[92:93]
	;; [unrolled: 1-line block ×3, first 2 shown]
	v_add_f64 v[68:69], v[12:13], v[68:69]
	v_add_f64 v[74:75], v[121:122], v[74:75]
	v_mul_f64 v[121:122], v[105:106], s[38:39]
	v_add_f64 v[80:81], v[103:104], v[80:81]
	v_fma_f64 v[103:104], v[119:120], s[28:29], v[107:108]
	v_add_f64 v[82:83], v[115:116], v[82:83]
	v_fma_f64 v[107:108], v[119:120], s[40:41], v[107:108]
	v_mul_f64 v[115:116], v[105:106], s[20:21]
	v_add_f64 v[84:85], v[92:93], v[84:85]
	v_add_f64 v[92:93], v[4:5], v[0:1]
	;; [unrolled: 1-line block ×4, first 2 shown]
	v_fma_f64 v[117:118], v[119:120], s[42:43], v[121:122]
	v_add_f64 v[109:110], v[123:124], v[109:110]
	v_add_f64 v[88:89], v[103:104], v[88:89]
	v_fma_f64 v[103:104], v[119:120], s[56:57], v[121:122]
	v_mul_f64 v[105:106], v[105:106], s[14:15]
	v_add_f64 v[86:87], v[107:108], v[86:87]
	v_fma_f64 v[107:108], v[119:120], s[48:49], v[115:116]
	v_fma_f64 v[115:116], v[119:120], s[26:27], v[115:116]
	v_add_f64 v[121:122], v[2:3], -v[6:7]
	v_mul_f64 v[123:124], v[92:93], s[38:39]
	v_add_f64 v[68:69], v[36:37], v[68:69]
	v_add_f64 v[76:77], v[117:118], v[76:77]
	v_mul_f64 v[117:118], v[92:93], s[16:17]
	v_add_f64 v[111:112], v[125:126], v[111:112]
	v_add_f64 v[113:114], v[103:104], v[113:114]
	v_fma_f64 v[103:104], v[119:120], s[50:51], v[105:106]
	v_add_f64 v[94:95], v[107:108], v[94:95]
	v_add_f64 v[90:91], v[115:116], v[90:91]
	v_fma_f64 v[105:106], v[119:120], s[24:25], v[105:106]
	v_fma_f64 v[107:108], v[121:122], s[56:57], v[123:124]
	v_mul_f64 v[115:116], v[92:93], s[34:35]
	v_fma_f64 v[119:120], v[121:122], s[42:43], v[123:124]
	v_add_f64 v[68:69], v[40:41], v[68:69]
	v_fma_f64 v[123:124], v[121:122], s[40:41], v[117:118]
	v_fma_f64 v[117:118], v[121:122], s[28:29], v[117:118]
	v_mul_f64 v[125:126], v[92:93], s[20:21]
	v_add_f64 v[111:112], v[103:104], v[111:112]
	v_add_f64 v[70:71], v[107:108], v[70:71]
	v_fma_f64 v[107:108], v[121:122], s[54:55], v[115:116]
	v_add_f64 v[103:104], v[119:120], v[72:73]
	v_fma_f64 v[72:73], v[121:122], s[36:37], v[115:116]
	v_add_f64 v[68:69], v[52:53], v[68:69]
	v_add_f64 v[105:106], v[105:106], v[32:33]
	;; [unrolled: 1-line block ×3, first 2 shown]
	v_fma_f64 v[80:81], v[121:122], s[48:49], v[125:126]
	v_fma_f64 v[115:116], v[121:122], s[26:27], v[125:126]
	v_mul_f64 v[117:118], v[92:93], s[22:23]
	v_add_f64 v[107:108], v[107:108], v[109:110]
	v_mul_f64 v[109:110], v[92:93], s[4:5]
	v_add_f64 v[72:73], v[72:73], v[82:83]
	v_mul_f64 v[82:83], v[92:93], s[14:15]
	v_mul_f64 v[92:93], v[92:93], s[6:7]
	v_add_f64 v[68:69], v[48:49], v[68:69]
	v_add_f64 v[78:79], v[80:81], v[78:79]
	;; [unrolled: 1-line block ×3, first 2 shown]
	v_fma_f64 v[84:85], v[121:122], s[46:47], v[117:118]
	v_fma_f64 v[115:116], v[121:122], s[30:31], v[117:118]
	;; [unrolled: 1-line block ×4, first 2 shown]
	v_add_f64 v[74:75], v[123:124], v[74:75]
	v_fma_f64 v[109:110], v[121:122], s[18:19], v[109:110]
	v_fma_f64 v[123:124], v[121:122], s[44:45], v[92:93]
	;; [unrolled: 1-line block ×4, first 2 shown]
	v_add_f64 v[68:69], v[44:45], v[68:69]
	v_add_f64 v[84:85], v[84:85], v[88:89]
	;; [unrolled: 1-line block ×9, first 2 shown]
	s_movk_i32 s33, 0x88
	v_mad_u32_u24 v113, v102, s33, 0
	s_load_dwordx2 s[2:3], s[2:3], 0x0
	ds_write2_b64 v113, v[68:69], v[70:71] offset1:1
	ds_write2_b64 v113, v[74:75], v[107:108] offset0:2 offset1:3
	ds_write2_b64 v113, v[78:79], v[84:85] offset0:4 offset1:5
	;; [unrolled: 1-line block ×7, first 2 shown]
	ds_write_b64 v113, v[103:104] offset:128
	v_lshlrev_b32_e32 v68, 7, v102
	v_sub_u32_e32 v117, v113, v68
	v_add_u32_e32 v114, 0x400, v117
	v_add_u32_e32 v115, 0x1000, v117
	;; [unrolled: 1-line block ×6, first 2 shown]
	s_waitcnt lgkmcnt(0)
	s_barrier
	ds_read2_b64 v[72:75], v117 offset1:85
	ds_read2_b64 v[68:71], v114 offset0:42 offset1:161
	ds_read2_b64 v[80:83], v115 offset0:66 offset1:151
	ds_read2_b64 v[76:79], v116 offset0:108 offset1:227
	ds_read2_b64 v[92:95], v118 offset0:132 offset1:217
	ds_read2_b64 v[88:91], v119 offset0:118 offset1:203
	ds_read2_b64 v[84:87], v120 offset0:56 offset1:141
	ds_read_b64 v[107:108], v117 offset:10608
	v_cmp_gt_u32_e32 vcc, 34, v102
                                        ; implicit-def: $vgpr105_vgpr106
                                        ; implicit-def: $vgpr109_vgpr110
                                        ; implicit-def: $vgpr111_vgpr112
	s_and_saveexec_b64 s[58:59], vcc
	s_cbranch_execz .LBB0_15
; %bb.14:
	ds_read_b64 v[32:33], v117 offset:2040
	ds_read_b64 v[103:104], v117 offset:4352
	;; [unrolled: 1-line block ×5, first 2 shown]
.LBB0_15:
	s_or_b64 exec, exec, s[58:59]
	v_add_f64 v[121:122], v[66:67], v[34:35]
	v_add_f64 v[52:53], v[56:57], -v[52:53]
	v_add_f64 v[44:45], v[64:65], -v[44:45]
	v_add_f64 v[64:65], v[46:47], v[66:67]
	v_add_f64 v[66:67], v[50:51], v[62:63]
	v_add_f64 v[48:49], v[60:61], -v[48:49]
	v_add_f64 v[60:61], v[54:55], v[58:59]
	v_add_f64 v[28:29], v[28:29], -v[40:41]
	v_add_f64 v[56:57], v[62:63], v[121:122]
	v_mul_f64 v[145:146], v[52:53], s[52:53]
	v_mul_f64 v[62:63], v[44:45], s[40:41]
	;; [unrolled: 1-line block ×7, first 2 shown]
	v_add_f64 v[56:57], v[58:59], v[56:57]
	v_mul_f64 v[131:132], v[44:45], s[36:37]
	v_mul_f64 v[44:45], v[44:45], s[42:43]
	v_fma_f64 v[155:156], v[64:65], s[16:17], v[62:63]
	v_fma_f64 v[62:63], v[64:65], s[16:17], -v[62:63]
	v_fma_f64 v[157:158], v[64:65], s[20:21], v[121:122]
	v_fma_f64 v[121:122], v[64:65], s[20:21], -v[121:122]
	v_fma_f64 v[159:160], v[64:65], s[4:5], v[123:124]
	v_add_f64 v[56:57], v[30:31], v[56:57]
	v_fma_f64 v[123:124], v[64:65], s[4:5], -v[123:124]
	v_fma_f64 v[161:162], v[64:65], s[6:7], v[125:126]
	v_fma_f64 v[125:126], v[64:65], s[6:7], -v[125:126]
	v_fma_f64 v[163:164], v[64:65], s[14:15], v[127:128]
	;; [unrolled: 2-line block ×3, first 2 shown]
	v_fma_f64 v[129:130], v[64:65], s[22:23], -v[129:130]
	v_add_f64 v[56:57], v[18:19], v[56:57]
	v_fma_f64 v[167:168], v[64:65], s[34:35], v[131:132]
	v_fma_f64 v[131:132], v[64:65], s[34:35], -v[131:132]
	v_fma_f64 v[169:170], v[64:65], s[38:39], v[44:45]
	v_fma_f64 v[44:45], v[64:65], s[38:39], -v[44:45]
	v_mul_f64 v[58:59], v[48:49], s[48:49]
	v_mul_f64 v[133:134], v[48:49], s[44:45]
	;; [unrolled: 1-line block ×3, first 2 shown]
	v_add_f64 v[56:57], v[22:23], v[56:57]
	v_mul_f64 v[137:138], v[48:49], s[42:43]
	v_add_f64 v[155:156], v[34:35], v[155:156]
	v_add_f64 v[62:63], v[34:35], v[62:63]
	;; [unrolled: 1-line block ×18, first 2 shown]
	v_mul_f64 v[139:140], v[48:49], s[54:55]
	v_mul_f64 v[141:142], v[48:49], s[50:51]
	;; [unrolled: 1-line block ×4, first 2 shown]
	v_add_f64 v[56:57], v[6:7], v[56:57]
	v_mul_f64 v[147:148], v[52:53], s[30:31]
	v_mul_f64 v[149:150], v[52:53], s[56:57]
	;; [unrolled: 1-line block ×3, first 2 shown]
	v_fma_f64 v[64:65], v[66:67], s[20:21], v[58:59]
	v_fma_f64 v[58:59], v[66:67], s[20:21], -v[58:59]
	v_fma_f64 v[171:172], v[66:67], s[6:7], v[133:134]
	v_fma_f64 v[133:134], v[66:67], s[6:7], -v[133:134]
	v_add_f64 v[56:57], v[14:15], v[56:57]
	v_fma_f64 v[173:174], v[66:67], s[22:23], v[135:136]
	v_fma_f64 v[135:136], v[66:67], s[22:23], -v[135:136]
	v_fma_f64 v[175:176], v[66:67], s[38:39], v[137:138]
	v_mul_f64 v[153:154], v[52:53], s[26:27]
	v_fma_f64 v[137:138], v[66:67], s[38:39], -v[137:138]
	v_fma_f64 v[177:178], v[66:67], s[34:35], v[139:140]
	v_fma_f64 v[139:140], v[66:67], s[34:35], -v[139:140]
	v_add_f64 v[56:57], v[26:27], v[56:57]
	v_fma_f64 v[179:180], v[66:67], s[14:15], v[141:142]
	v_fma_f64 v[141:142], v[66:67], s[14:15], -v[141:142]
	v_fma_f64 v[181:182], v[66:67], s[4:5], v[143:144]
	v_fma_f64 v[143:144], v[66:67], s[4:5], -v[143:144]
	;; [unrolled: 2-line block ×3, first 2 shown]
	v_fma_f64 v[66:67], v[60:61], s[4:5], v[145:146]
	v_add_f64 v[56:57], v[38:39], v[56:57]
	v_fma_f64 v[145:146], v[60:61], s[4:5], -v[145:146]
	v_fma_f64 v[185:186], v[60:61], s[22:23], v[147:148]
	v_fma_f64 v[147:148], v[60:61], s[22:23], -v[147:148]
	v_fma_f64 v[187:188], v[60:61], s[38:39], v[149:150]
	v_fma_f64 v[149:150], v[60:61], s[38:39], -v[149:150]
	v_fma_f64 v[189:190], v[60:61], s[14:15], v[151:152]
	v_add_f64 v[58:59], v[58:59], v[62:63]
	v_add_f64 v[44:45], v[42:43], v[56:57]
	;; [unrolled: 1-line block ×16, first 2 shown]
	v_mul_f64 v[66:67], v[52:53], s[40:41]
	v_add_f64 v[44:45], v[50:51], v[44:45]
	v_fma_f64 v[121:122], v[60:61], s[20:21], -v[153:154]
	v_mul_f64 v[40:41], v[52:53], s[36:37]
	v_add_f64 v[135:136], v[179:180], v[165:166]
	v_add_f64 v[129:130], v[141:142], v[129:130]
	;; [unrolled: 1-line block ×4, first 2 shown]
	v_mul_f64 v[42:43], v[28:29], s[44:45]
	v_add_f64 v[44:45], v[46:47], v[44:45]
	v_add_f64 v[46:47], v[149:150], v[123:124]
	;; [unrolled: 1-line block ×3, first 2 shown]
	v_mul_f64 v[133:134], v[52:53], s[44:45]
	v_fma_f64 v[52:53], v[60:61], s[16:17], v[66:67]
	v_add_f64 v[121:122], v[121:122], v[127:128]
	v_fma_f64 v[66:67], v[60:61], s[16:17], -v[66:67]
	v_fma_f64 v[139:140], v[60:61], s[34:35], v[40:41]
	v_fma_f64 v[40:41], v[60:61], s[34:35], -v[40:41]
	v_fma_f64 v[151:152], v[60:61], s[14:15], -v[151:152]
	v_fma_f64 v[191:192], v[60:61], s[20:21], v[153:154]
	v_fma_f64 v[127:128], v[60:61], s[6:7], v[133:134]
	v_fma_f64 v[133:134], v[60:61], s[6:7], -v[133:134]
	v_add_f64 v[54:55], v[137:138], v[125:126]
	v_add_f64 v[137:138], v[181:182], v[167:168]
	;; [unrolled: 1-line block ×4, first 2 shown]
	v_mul_f64 v[66:67], v[28:29], s[42:43]
	v_add_f64 v[34:35], v[40:41], v[34:35]
	v_fma_f64 v[40:41], v[30:31], s[6:7], -v[42:43]
	v_add_f64 v[129:130], v[133:134], v[131:132]
	v_fma_f64 v[131:132], v[30:31], s[6:7], v[42:43]
	v_mul_f64 v[133:134], v[28:29], s[50:51]
	v_mul_f64 v[135:136], v[28:29], s[28:29]
	v_add_f64 v[125:126], v[177:178], v[163:164]
	v_add_f64 v[127:128], v[127:128], v[137:138]
	v_fma_f64 v[42:43], v[30:31], s[38:39], v[66:67]
	v_fma_f64 v[66:67], v[30:31], s[38:39], -v[66:67]
	v_add_f64 v[40:41], v[40:41], v[56:57]
	v_add_f64 v[48:49], v[131:132], v[48:49]
	v_mul_f64 v[131:132], v[28:29], s[52:53]
	v_fma_f64 v[137:138], v[30:31], s[14:15], v[133:134]
	v_fma_f64 v[133:134], v[30:31], s[14:15], -v[133:134]
	v_fma_f64 v[56:57], v[30:31], s[16:17], v[135:136]
	v_add_f64 v[54:55], v[151:152], v[54:55]
	v_add_f64 v[125:126], v[191:192], v[125:126]
	;; [unrolled: 1-line block ×4, first 2 shown]
	v_fma_f64 v[62:63], v[30:31], s[16:17], -v[135:136]
	v_fma_f64 v[66:67], v[30:31], s[4:5], v[131:132]
	v_add_f64 v[46:47], v[133:134], v[46:47]
	v_mul_f64 v[133:134], v[28:29], s[36:37]
	v_fma_f64 v[131:132], v[30:31], s[4:5], -v[131:132]
	v_add_f64 v[56:57], v[56:57], v[123:124]
	v_mul_f64 v[123:124], v[28:29], s[46:47]
	v_add_f64 v[16:17], v[16:17], -v[36:37]
	v_mul_f64 v[28:29], v[28:29], s[26:27]
	v_add_f64 v[54:55], v[62:63], v[54:55]
	v_add_f64 v[62:63], v[66:67], v[125:126]
	v_fma_f64 v[36:37], v[30:31], s[34:35], v[133:134]
	v_add_f64 v[66:67], v[131:132], v[121:122]
	v_fma_f64 v[121:122], v[30:31], s[34:35], -v[133:134]
	v_fma_f64 v[125:126], v[30:31], s[22:23], v[123:124]
	v_fma_f64 v[123:124], v[30:31], s[22:23], -v[123:124]
	v_add_f64 v[18:19], v[38:39], v[18:19]
	v_mul_f64 v[38:39], v[16:17], s[24:25]
	v_fma_f64 v[131:132], v[30:31], s[20:21], v[28:29]
	v_fma_f64 v[28:29], v[30:31], s[20:21], -v[28:29]
	v_add_f64 v[36:37], v[36:37], v[52:53]
	v_add_f64 v[30:31], v[121:122], v[60:61]
	v_mul_f64 v[52:53], v[16:17], s[54:55]
	v_add_f64 v[60:61], v[125:126], v[127:128]
	v_add_f64 v[121:122], v[123:124], v[129:130]
	v_fma_f64 v[123:124], v[18:19], s[14:15], v[38:39]
	v_mul_f64 v[125:126], v[16:17], s[26:27]
	v_add_f64 v[28:29], v[28:29], v[34:35]
	v_fma_f64 v[34:35], v[18:19], s[14:15], -v[38:39]
	v_mul_f64 v[127:128], v[16:17], s[52:53]
	v_fma_f64 v[38:39], v[18:19], s[34:35], v[52:53]
	v_fma_f64 v[52:53], v[18:19], s[34:35], -v[52:53]
	v_add_f64 v[20:21], v[20:21], -v[24:25]
	v_add_f64 v[48:49], v[123:124], v[48:49]
	v_mul_f64 v[123:124], v[16:17], s[42:43]
	v_fma_f64 v[129:130], v[18:19], s[20:21], v[125:126]
	v_fma_f64 v[125:126], v[18:19], s[20:21], -v[125:126]
	v_add_f64 v[34:35], v[34:35], v[40:41]
	v_fma_f64 v[40:41], v[18:19], s[4:5], v[127:128]
	v_add_f64 v[38:39], v[38:39], v[42:43]
	v_add_f64 v[42:43], v[52:53], v[58:59]
	v_fma_f64 v[52:53], v[18:19], s[4:5], -v[127:128]
	v_fma_f64 v[58:59], v[18:19], s[38:39], v[123:124]
	v_fma_f64 v[123:124], v[18:19], s[38:39], -v[123:124]
	v_add_f64 v[46:47], v[125:126], v[46:47]
	v_mul_f64 v[125:126], v[16:17], s[8:9]
	v_add_f64 v[40:41], v[40:41], v[56:57]
	v_mul_f64 v[56:57], v[16:17], s[40:41]
	v_mul_f64 v[16:17], v[16:17], s[30:31]
	v_add_f64 v[52:53], v[52:53], v[54:55]
	v_add_f64 v[54:55], v[58:59], v[62:63]
	;; [unrolled: 1-line block ×4, first 2 shown]
	v_fma_f64 v[24:25], v[18:19], s[6:7], v[125:126]
	v_fma_f64 v[62:63], v[18:19], s[6:7], -v[125:126]
	v_fma_f64 v[66:67], v[18:19], s[16:17], v[56:57]
	v_mul_f64 v[26:27], v[20:21], s[30:31]
	v_fma_f64 v[123:124], v[18:19], s[22:23], v[16:17]
	v_fma_f64 v[16:17], v[18:19], s[22:23], -v[16:17]
	v_fma_f64 v[56:57], v[18:19], s[16:17], -v[56:57]
	v_add_f64 v[8:9], v[8:9], -v[12:13]
	v_add_f64 v[24:25], v[24:25], v[36:37]
	v_add_f64 v[18:19], v[62:63], v[30:31]
	;; [unrolled: 1-line block ×3, first 2 shown]
	v_mul_f64 v[36:37], v[20:21], s[50:51]
	v_fma_f64 v[60:61], v[22:23], s[22:23], v[26:27]
	v_mul_f64 v[62:63], v[20:21], s[40:41]
	v_add_f64 v[16:17], v[16:17], v[28:29]
	v_fma_f64 v[26:27], v[22:23], s[22:23], -v[26:27]
	v_mul_f64 v[28:29], v[20:21], s[36:37]
	v_add_f64 v[56:57], v[56:57], v[121:122]
	v_add_f64 v[64:65], v[137:138], v[64:65]
	v_fma_f64 v[66:67], v[22:23], s[14:15], v[36:37]
	v_fma_f64 v[36:37], v[22:23], s[14:15], -v[36:37]
	v_add_f64 v[48:49], v[60:61], v[48:49]
	v_mul_f64 v[60:61], v[20:21], s[8:9]
	v_fma_f64 v[121:122], v[22:23], s[16:17], v[62:63]
	v_fma_f64 v[62:63], v[22:23], s[16:17], -v[62:63]
	v_add_f64 v[26:27], v[26:27], v[34:35]
	v_fma_f64 v[34:35], v[22:23], s[34:35], v[28:29]
	v_fma_f64 v[28:29], v[22:23], s[34:35], -v[28:29]
	v_add_f64 v[36:37], v[36:37], v[42:43]
	v_mul_f64 v[12:13], v[20:21], s[18:19]
	v_fma_f64 v[42:43], v[22:23], s[6:7], v[60:61]
	v_add_f64 v[10:11], v[14:15], v[10:11]
	v_add_f64 v[46:47], v[62:63], v[46:47]
	v_mul_f64 v[62:63], v[20:21], s[48:49]
	v_add_f64 v[34:35], v[34:35], v[40:41]
	v_fma_f64 v[40:41], v[22:23], s[6:7], -v[60:61]
	v_mul_f64 v[60:61], v[20:21], s[42:43]
	v_add_f64 v[28:29], v[28:29], v[52:53]
	v_add_f64 v[42:43], v[42:43], v[54:55]
	v_mul_f64 v[14:15], v[8:9], s[36:37]
	v_add_f64 v[50:51], v[183:184], v[169:170]
	v_fma_f64 v[20:21], v[22:23], s[20:21], v[62:63]
	v_fma_f64 v[52:53], v[22:23], s[20:21], -v[62:63]
	v_add_f64 v[64:65], v[129:130], v[64:65]
	v_fma_f64 v[54:55], v[22:23], s[38:39], v[60:61]
	v_add_f64 v[40:41], v[40:41], v[58:59]
	v_fma_f64 v[58:59], v[22:23], s[38:39], -v[60:61]
	v_fma_f64 v[60:61], v[22:23], s[4:5], v[12:13]
	v_fma_f64 v[12:13], v[22:23], s[4:5], -v[12:13]
	v_add_f64 v[20:21], v[20:21], v[24:25]
	v_mul_f64 v[24:25], v[8:9], s[18:19]
	v_add_f64 v[18:19], v[52:53], v[18:19]
	v_add_f64 v[22:23], v[54:55], v[30:31]
	v_mul_f64 v[54:55], v[8:9], s[44:45]
	v_fma_f64 v[52:53], v[10:11], s[34:35], v[14:15]
	v_fma_f64 v[14:15], v[10:11], s[34:35], -v[14:15]
	v_add_f64 v[50:51], v[139:140], v[50:51]
	v_add_f64 v[38:39], v[66:67], v[38:39]
	v_add_f64 v[64:65], v[121:122], v[64:65]
	v_add_f64 v[30:31], v[58:59], v[56:57]
	v_add_f64 v[12:13], v[12:13], v[16:17]
	v_mul_f64 v[16:17], v[8:9], s[46:47]
	v_fma_f64 v[56:57], v[10:11], s[4:5], v[24:25]
	v_fma_f64 v[58:59], v[10:11], s[6:7], v[54:55]
	v_fma_f64 v[24:25], v[10:11], s[4:5], -v[24:25]
	v_add_f64 v[48:49], v[52:53], v[48:49]
	v_mul_f64 v[52:53], v[8:9], s[40:41]
	v_add_f64 v[14:15], v[14:15], v[26:27]
	v_fma_f64 v[26:27], v[10:11], s[6:7], -v[54:55]
	v_add_f64 v[50:51], v[131:132], v[50:51]
	v_fma_f64 v[54:55], v[10:11], s[22:23], v[16:17]
	v_add_f64 v[38:39], v[56:57], v[38:39]
	v_fma_f64 v[16:17], v[10:11], s[22:23], -v[16:17]
	v_add_f64 v[56:57], v[58:59], v[64:65]
	v_mul_f64 v[58:59], v[8:9], s[42:43]
	v_add_f64 v[24:25], v[24:25], v[36:37]
	v_fma_f64 v[36:37], v[10:11], s[16:17], v[52:53]
	v_add_f64 v[26:27], v[26:27], v[46:47]
	v_fma_f64 v[46:47], v[10:11], s[16:17], -v[52:53]
	v_mul_f64 v[52:53], v[8:9], s[26:27]
	v_add_f64 v[0:1], v[0:1], -v[4:5]
	v_add_f64 v[50:51], v[123:124], v[50:51]
	v_add_f64 v[16:17], v[16:17], v[28:29]
	v_fma_f64 v[4:5], v[10:11], s[38:39], v[58:59]
	v_fma_f64 v[28:29], v[10:11], s[38:39], -v[58:59]
	v_mul_f64 v[8:9], v[8:9], s[24:25]
	v_add_f64 v[42:43], v[36:37], v[42:43]
	v_fma_f64 v[36:37], v[10:11], s[20:21], v[52:53]
	v_add_f64 v[2:3], v[6:7], v[2:3]
	v_mul_f64 v[6:7], v[0:1], s[42:43]
	v_add_f64 v[50:51], v[60:61], v[50:51]
	v_add_f64 v[40:41], v[46:47], v[40:41]
	v_fma_f64 v[46:47], v[10:11], s[20:21], -v[52:53]
	v_add_f64 v[4:5], v[4:5], v[20:21]
	v_add_f64 v[18:19], v[28:29], v[18:19]
	v_fma_f64 v[20:21], v[10:11], s[14:15], v[8:9]
	v_mul_f64 v[28:29], v[0:1], s[28:29]
	v_add_f64 v[22:23], v[36:37], v[22:23]
	v_fma_f64 v[8:9], v[10:11], s[14:15], -v[8:9]
	v_fma_f64 v[10:11], v[2:3], s[38:39], v[6:7]
	v_mul_f64 v[36:37], v[0:1], s[36:37]
	v_fma_f64 v[6:7], v[2:3], s[38:39], -v[6:7]
	v_add_f64 v[30:31], v[46:47], v[30:31]
	v_add_f64 v[20:21], v[20:21], v[50:51]
	v_fma_f64 v[46:47], v[2:3], s[16:17], v[28:29]
	v_mul_f64 v[50:51], v[0:1], s[26:27]
	v_fma_f64 v[52:53], v[2:3], s[16:17], -v[28:29]
	v_add_f64 v[8:9], v[8:9], v[12:13]
	v_fma_f64 v[12:13], v[2:3], s[34:35], v[36:37]
	v_add_f64 v[28:29], v[6:7], v[14:15]
	v_fma_f64 v[6:7], v[2:3], s[34:35], -v[36:37]
	v_add_f64 v[34:35], v[54:55], v[34:35]
	v_add_f64 v[14:15], v[46:47], v[38:39]
	v_mul_f64 v[46:47], v[0:1], s[30:31]
	v_add_f64 v[36:37], v[52:53], v[24:25]
	v_fma_f64 v[24:25], v[2:3], s[20:21], -v[50:51]
	v_add_f64 v[10:11], v[10:11], v[48:49]
	v_fma_f64 v[38:39], v[2:3], s[20:21], v[50:51]
	v_mul_f64 v[48:49], v[0:1], s[18:19]
	v_add_f64 v[6:7], v[6:7], v[26:27]
	v_mul_f64 v[26:27], v[0:1], s[24:25]
	v_mul_f64 v[0:1], v[0:1], s[8:9]
	v_add_f64 v[12:13], v[12:13], v[56:57]
	v_add_f64 v[16:17], v[24:25], v[16:17]
	v_fma_f64 v[24:25], v[2:3], s[22:23], v[46:47]
	v_add_f64 v[34:35], v[38:39], v[34:35]
	v_fma_f64 v[38:39], v[2:3], s[22:23], -v[46:47]
	v_fma_f64 v[46:47], v[2:3], s[4:5], v[48:49]
	v_fma_f64 v[50:51], v[2:3], s[14:15], v[26:27]
	;; [unrolled: 1-line block ×3, first 2 shown]
	v_fma_f64 v[0:1], v[2:3], s[6:7], -v[0:1]
	v_fma_f64 v[48:49], v[2:3], s[4:5], -v[48:49]
	;; [unrolled: 1-line block ×3, first 2 shown]
	v_add_f64 v[2:3], v[24:25], v[42:43]
	v_add_f64 v[24:25], v[38:39], v[40:41]
	;; [unrolled: 1-line block ×8, first 2 shown]
	s_waitcnt lgkmcnt(0)
	s_barrier
	ds_write2_b64 v113, v[44:45], v[10:11] offset1:1
	ds_write2_b64 v113, v[14:15], v[12:13] offset0:2 offset1:3
	ds_write2_b64 v113, v[34:35], v[2:3] offset0:4 offset1:5
	ds_write2_b64 v113, v[4:5], v[22:23] offset0:6 offset1:7
	ds_write2_b64 v113, v[20:21], v[0:1] offset0:8 offset1:9
	ds_write2_b64 v113, v[26:27], v[18:19] offset0:10 offset1:11
	ds_write2_b64 v113, v[24:25], v[16:17] offset0:12 offset1:13
	ds_write2_b64 v113, v[6:7], v[36:37] offset0:14 offset1:15
	ds_write_b64 v113, v[28:29] offset:128
	s_waitcnt lgkmcnt(0)
	s_barrier
	ds_read2_b64 v[4:7], v117 offset1:85
	ds_read2_b64 v[0:3], v114 offset0:42 offset1:161
	ds_read2_b64 v[24:27], v115 offset0:66 offset1:151
	;; [unrolled: 1-line block ×6, first 2 shown]
	ds_read_b64 v[40:41], v117 offset:10608
                                        ; implicit-def: $vgpr30_vgpr31
                                        ; implicit-def: $vgpr34_vgpr35
                                        ; implicit-def: $vgpr42_vgpr43
	s_and_saveexec_b64 s[4:5], vcc
	s_cbranch_execz .LBB0_17
; %bb.16:
	ds_read_b64 v[36:37], v117 offset:2040
	ds_read_b64 v[28:29], v117 offset:4352
	;; [unrolled: 1-line block ×5, first 2 shown]
.LBB0_17:
	s_or_b64 exec, exec, s[4:5]
	s_movk_i32 s4, 0xf1
	v_mul_lo_u16_sdwa v39, v102, s4 dst_sel:DWORD dst_unused:UNUSED_PAD src0_sel:BYTE_0 src1_sel:DWORD
	v_lshrrev_b16_e32 v191, 12, v39
	v_mul_lo_u16_e32 v39, 17, v191
	v_sub_u16_e32 v192, v102, v39
	v_mov_b32_e32 v39, 6
	v_lshlrev_b32_sdwa v60, v39, v192 dst_sel:DWORD dst_unused:UNUSED_PAD src0_sel:DWORD src1_sel:BYTE_0
	global_load_dwordx4 v[44:47], v60, s[12:13] offset:48
	global_load_dwordx4 v[48:51], v60, s[12:13] offset:32
	;; [unrolled: 1-line block ×3, first 2 shown]
	global_load_dwordx4 v[56:59], v60, s[12:13]
	v_add_u16_e32 v60, 0x55, v102
	v_mul_lo_u16_sdwa v61, v60, s4 dst_sel:DWORD dst_unused:UNUSED_PAD src0_sel:BYTE_0 src1_sel:DWORD
	v_lshrrev_b16_e32 v193, 12, v61
	v_mul_lo_u16_e32 v61, 17, v193
	v_sub_u16_e32 v194, v60, v61
	v_lshlrev_b32_sdwa v64, v39, v194 dst_sel:DWORD dst_unused:UNUSED_PAD src0_sel:DWORD src1_sel:BYTE_0
	global_load_dwordx4 v[119:122], v64, s[12:13] offset:48
	global_load_dwordx4 v[123:126], v64, s[12:13] offset:32
	global_load_dwordx4 v[60:63], v64, s[12:13] offset:16
	global_load_dwordx4 v[127:130], v64, s[12:13]
	v_add_u16_e32 v64, 0xaa, v102
	v_mul_lo_u16_sdwa v65, v64, s4 dst_sel:DWORD dst_unused:UNUSED_PAD src0_sel:BYTE_0 src1_sel:DWORD
	v_lshrrev_b16_e32 v195, 12, v65
	v_mul_lo_u16_e32 v65, 17, v195
	v_sub_u16_e32 v196, v64, v65
	v_add_u32_e32 v38, 0xff, v102
	v_lshlrev_b32_sdwa v39, v39, v196 dst_sel:DWORD dst_unused:UNUSED_PAD src0_sel:DWORD src1_sel:BYTE_0
	s_mov_b32 s4, 0xf0f1
	global_load_dwordx4 v[131:134], v39, s[12:13] offset:16
	global_load_dwordx4 v[135:138], v39, s[12:13]
	global_load_dwordx4 v[139:142], v39, s[12:13] offset:48
	global_load_dwordx4 v[143:146], v39, s[12:13] offset:32
	v_mul_u32_u24_sdwa v39, v38, s4 dst_sel:DWORD dst_unused:UNUSED_PAD src0_sel:WORD_0 src1_sel:DWORD
	v_lshrrev_b32_e32 v118, 20, v39
	v_mul_lo_u16_e32 v39, 17, v118
	v_sub_u16_e32 v197, v38, v39
	v_lshlrev_b32_e32 v38, 6, v197
	global_load_dwordx4 v[147:150], v38, s[12:13]
	global_load_dwordx4 v[151:154], v38, s[12:13] offset:16
	global_load_dwordx4 v[155:158], v38, s[12:13] offset:32
	;; [unrolled: 1-line block ×3, first 2 shown]
	s_mov_b32 s8, 0x134454ff
	s_mov_b32 s9, 0x3fee6f0e
	;; [unrolled: 1-line block ×10, first 2 shown]
	s_waitcnt vmcnt(0) lgkmcnt(0)
	s_barrier
	v_mul_f64 v[163:164], v[20:21], v[46:47]
	v_mul_f64 v[115:116], v[14:15], v[50:51]
	;; [unrolled: 1-line block ×9, first 2 shown]
	v_fma_f64 v[115:116], v[78:79], v[48:49], -v[115:116]
	v_fma_f64 v[80:81], v[80:81], v[52:53], -v[66:67]
	;; [unrolled: 1-line block ×3, first 2 shown]
	v_mul_f64 v[167:168], v[26:27], v[62:63]
	v_mul_f64 v[169:170], v[82:83], v[62:63]
	v_fma_f64 v[64:65], v[2:3], v[56:57], v[58:59]
	v_fma_f64 v[92:93], v[92:93], v[44:45], -v[163:164]
	v_mul_f64 v[177:178], v[12:13], v[133:134]
	v_fma_f64 v[56:57], v[20:21], v[44:45], v[46:47]
	v_mul_f64 v[181:182], v[40:41], v[141:142]
	v_mul_f64 v[141:142], v[107:108], v[141:142]
	v_add_f64 v[44:45], v[72:73], v[113:114]
	v_add_f64 v[46:47], v[80:81], v[115:116]
	v_mul_f64 v[183:184], v[28:29], v[149:150]
	v_mul_f64 v[149:150], v[103:104], v[149:150]
	;; [unrolled: 1-line block ×17, first 2 shown]
	v_fma_f64 v[66:67], v[24:25], v[52:53], v[54:55]
	v_fma_f64 v[62:63], v[14:15], v[48:49], v[50:51]
	v_fma_f64 v[58:59], v[82:83], v[60:61], -v[167:168]
	v_fma_f64 v[26:27], v[26:27], v[60:61], v[169:170]
	v_fma_f64 v[60:61], v[84:85], v[123:124], -v[171:172]
	v_fma_f64 v[14:15], v[76:77], v[131:132], -v[177:178]
	v_fma_f64 v[2:3], v[40:41], v[139:140], v[141:142]
	v_fma_f64 v[40:41], v[28:29], v[147:148], v[149:150]
	v_add_f64 v[28:29], v[64:65], -v[56:57]
	v_add_f64 v[54:55], v[44:45], v[80:81]
	v_fma_f64 v[76:77], v[46:47], -0.5, v[72:73]
	v_fma_f64 v[44:45], v[42:43], v[151:152], v[153:154]
	v_fma_f64 v[42:43], v[34:35], v[155:156], v[157:158]
	v_add_f64 v[34:35], v[113:114], v[92:93]
	v_mul_f64 v[145:146], v[86:87], v[145:146]
	v_fma_f64 v[70:71], v[88:89], v[127:128], -v[165:166]
	v_fma_f64 v[38:39], v[16:17], v[127:128], v[129:130]
	v_fma_f64 v[16:17], v[8:9], v[123:124], v[125:126]
	;; [unrolled: 1-line block ×3, first 2 shown]
	v_fma_f64 v[20:21], v[90:91], v[135:136], -v[175:176]
	v_fma_f64 v[8:9], v[18:19], v[135:136], v[137:138]
	v_fma_f64 v[18:19], v[86:87], v[143:144], -v[179:180]
	v_add_f64 v[82:83], v[66:67], -v[62:63]
	v_add_f64 v[84:85], v[113:114], -v[80:81]
	;; [unrolled: 1-line block ×3, first 2 shown]
	v_add_f64 v[88:89], v[54:55], v[115:116]
	v_fma_f64 v[90:91], v[28:29], s[8:9], v[76:77]
	v_fma_f64 v[46:47], v[30:31], v[159:160], v[161:162]
	v_add_f64 v[30:31], v[58:59], v[60:61]
	v_fma_f64 v[34:35], v[34:35], -0.5, v[72:73]
	v_fma_f64 v[72:73], v[28:29], s[14:15], v[76:77]
	v_add_f64 v[76:77], v[74:75], v[70:71]
	v_add_f64 v[84:85], v[84:85], v[86:87]
	;; [unrolled: 1-line block ×3, first 2 shown]
	v_fma_f64 v[88:89], v[82:83], s[4:5], v[90:91]
	v_add_f64 v[90:91], v[38:39], -v[22:23]
	v_fma_f64 v[30:31], v[30:31], -0.5, v[74:75]
	v_fma_f64 v[78:79], v[94:95], v[119:120], -v[173:174]
	v_fma_f64 v[52:53], v[103:104], v[147:148], -v[183:184]
	;; [unrolled: 1-line block ×3, first 2 shown]
	v_fma_f64 v[94:95], v[82:83], s[14:15], v[34:35]
	v_add_f64 v[103:104], v[80:81], -v[113:114]
	v_add_f64 v[105:106], v[115:116], -v[92:93]
	v_fma_f64 v[34:35], v[82:83], s[8:9], v[34:35]
	v_fma_f64 v[72:73], v[82:83], s[16:17], v[72:73]
	v_fma_f64 v[24:25], v[107:108], v[139:140], -v[181:182]
	v_fma_f64 v[50:51], v[109:110], v[155:156], -v[187:188]
	v_add_f64 v[76:77], v[76:77], v[58:59]
	v_fma_f64 v[107:108], v[90:91], s[8:9], v[30:31]
	v_add_f64 v[109:110], v[26:27], -v[16:17]
	v_fma_f64 v[48:49], v[111:112], v[151:152], -v[185:186]
	v_add_f64 v[111:112], v[70:71], -v[58:59]
	v_add_f64 v[119:120], v[78:79], -v[60:61]
	v_add_f64 v[82:83], v[70:71], v[78:79]
	v_fma_f64 v[94:95], v[28:29], s[4:5], v[94:95]
	v_add_f64 v[103:104], v[103:104], v[105:106]
	v_fma_f64 v[28:29], v[28:29], s[16:17], v[34:35]
	v_fma_f64 v[88:89], v[84:85], s[6:7], v[88:89]
	v_fma_f64 v[72:73], v[84:85], s[6:7], v[72:73]
	v_add_f64 v[84:85], v[14:15], v[18:19]
	v_fma_f64 v[12:13], v[12:13], v[131:132], v[133:134]
	v_fma_f64 v[10:11], v[10:11], v[143:144], v[145:146]
	v_add_f64 v[34:35], v[76:77], v[60:61]
	v_fma_f64 v[76:77], v[109:110], s[4:5], v[107:108]
	v_add_f64 v[107:108], v[20:21], v[24:25]
	v_add_f64 v[105:106], v[111:112], v[119:120]
	v_fma_f64 v[74:75], v[82:83], -0.5, v[74:75]
	v_fma_f64 v[82:83], v[103:104], s[6:7], v[94:95]
	v_fma_f64 v[28:29], v[103:104], s[6:7], v[28:29]
	;; [unrolled: 1-line block ×3, first 2 shown]
	v_add_f64 v[103:104], v[58:59], -v[70:71]
	v_add_f64 v[111:112], v[60:61], -v[78:79]
	v_add_f64 v[119:120], v[68:69], v[20:21]
	v_fma_f64 v[84:85], v[84:85], -0.5, v[68:69]
	v_add_f64 v[121:122], v[8:9], -v[2:3]
	v_add_f64 v[123:124], v[12:13], -v[10:11]
	v_fma_f64 v[68:69], v[107:108], -0.5, v[68:69]
	v_fma_f64 v[94:95], v[109:110], s[14:15], v[74:75]
	v_fma_f64 v[30:31], v[109:110], s[16:17], v[30:31]
	v_add_f64 v[103:104], v[103:104], v[111:112]
	v_fma_f64 v[74:75], v[109:110], s[8:9], v[74:75]
	v_add_f64 v[107:108], v[119:120], v[14:15]
	v_fma_f64 v[109:110], v[121:122], s[8:9], v[84:85]
	v_add_f64 v[111:112], v[20:21], -v[14:15]
	v_add_f64 v[119:120], v[24:25], -v[18:19]
	v_fma_f64 v[125:126], v[123:124], s[14:15], v[68:69]
	v_add_f64 v[127:128], v[14:15], -v[20:21]
	v_add_f64 v[129:130], v[18:19], -v[24:25]
	v_fma_f64 v[68:69], v[123:124], s[8:9], v[68:69]
	v_fma_f64 v[84:85], v[121:122], s[14:15], v[84:85]
	;; [unrolled: 1-line block ×4, first 2 shown]
	v_add_f64 v[90:91], v[107:108], v[18:19]
	v_fma_f64 v[107:108], v[123:124], s[4:5], v[109:110]
	v_add_f64 v[109:110], v[111:112], v[119:120]
	v_fma_f64 v[111:112], v[121:122], s[4:5], v[125:126]
	;; [unrolled: 2-line block ×3, first 2 shown]
	v_fma_f64 v[84:85], v[123:124], s[16:17], v[84:85]
	v_add_f64 v[34:35], v[34:35], v[78:79]
	v_fma_f64 v[76:77], v[105:106], s[6:7], v[76:77]
	v_fma_f64 v[94:95], v[103:104], s[6:7], v[94:95]
	;; [unrolled: 1-line block ×3, first 2 shown]
	v_add_f64 v[90:91], v[90:91], v[24:25]
	v_fma_f64 v[103:104], v[109:110], s[6:7], v[107:108]
	v_fma_f64 v[30:31], v[105:106], s[6:7], v[30:31]
	;; [unrolled: 1-line block ×5, first 2 shown]
	v_mov_b32_e32 v109, 3
	v_mul_u32_u24_e32 v68, 0x2a8, v191
	v_lshlrev_b32_sdwa v69, v109, v192 dst_sel:DWORD dst_unused:UNUSED_PAD src0_sel:DWORD src1_sel:BYTE_0
	v_add3_u32 v69, 0, v68, v69
	ds_write2_b64 v69, v[86:87], v[88:89] offset1:17
	ds_write2_b64 v69, v[82:83], v[28:29] offset0:34 offset1:51
	ds_write_b64 v69, v[72:73] offset:544
	v_mul_u32_u24_e32 v28, 0x2a8, v193
	v_lshlrev_b32_sdwa v29, v109, v194 dst_sel:DWORD dst_unused:UNUSED_PAD src0_sel:DWORD src1_sel:BYTE_0
	v_add3_u32 v72, 0, v28, v29
	v_mul_u32_u24_e32 v28, 0x2a8, v195
	v_lshlrev_b32_sdwa v29, v109, v196 dst_sel:DWORD dst_unused:UNUSED_PAD src0_sel:DWORD src1_sel:BYTE_0
	v_add3_u32 v73, 0, v28, v29
	v_lshlrev_b32_e32 v68, 3, v197
	ds_write2_b64 v72, v[34:35], v[76:77] offset1:17
	ds_write2_b64 v72, v[94:95], v[74:75] offset0:34 offset1:51
	ds_write_b64 v72, v[30:31] offset:544
	ds_write2_b64 v73, v[90:91], v[103:104] offset1:17
	ds_write2_b64 v73, v[105:106], v[107:108] offset0:34 offset1:51
	ds_write_b64 v73, v[84:85] offset:544
	s_and_saveexec_b64 s[18:19], vcc
	s_cbranch_execz .LBB0_19
; %bb.18:
	v_add_f64 v[30:31], v[48:49], v[50:51]
	v_add_f64 v[28:29], v[52:53], v[54:55]
	v_add_f64 v[74:75], v[40:41], -v[46:47]
	v_add_f64 v[76:77], v[32:33], v[52:53]
	v_add_f64 v[34:35], v[44:45], -v[42:43]
	v_add_f64 v[82:83], v[50:51], -v[54:55]
	;; [unrolled: 1-line block ×4, first 2 shown]
	v_fma_f64 v[30:31], v[30:31], -0.5, v[32:33]
	v_fma_f64 v[28:29], v[28:29], -0.5, v[32:33]
	v_add_f64 v[32:33], v[48:49], -v[52:53]
	v_add_f64 v[76:77], v[76:77], v[48:49]
	v_fma_f64 v[90:91], v[74:75], s[8:9], v[30:31]
	v_fma_f64 v[88:89], v[34:35], s[8:9], v[28:29]
	;; [unrolled: 1-line block ×4, first 2 shown]
	v_add_f64 v[32:33], v[32:33], v[82:83]
	v_add_f64 v[82:83], v[84:85], v[86:87]
	;; [unrolled: 1-line block ×3, first 2 shown]
	v_fma_f64 v[86:87], v[34:35], s[4:5], v[90:91]
	v_fma_f64 v[84:85], v[74:75], s[16:17], v[88:89]
	;; [unrolled: 1-line block ×4, first 2 shown]
	v_add_f64 v[34:35], v[76:77], v[54:55]
	v_fma_f64 v[76:77], v[82:83], s[6:7], v[86:87]
	v_fma_f64 v[74:75], v[32:33], s[6:7], v[84:85]
	;; [unrolled: 1-line block ×4, first 2 shown]
	v_mul_lo_u16_e32 v32, 0x55, v118
	v_lshlrev_b32_e32 v32, 3, v32
	v_add3_u32 v32, 0, v68, v32
	ds_write2_b64 v32, v[34:35], v[76:77] offset1:17
	ds_write2_b64 v32, v[28:29], v[74:75] offset0:34 offset1:51
	ds_write_b64 v32, v[30:31] offset:544
.LBB0_19:
	s_or_b64 exec, exec, s[18:19]
	v_add_f64 v[28:29], v[4:5], v[64:65]
	v_add_f64 v[30:31], v[66:67], v[62:63]
	;; [unrolled: 1-line block ×3, first 2 shown]
	v_add_f64 v[32:33], v[113:114], -v[92:93]
	v_add_f64 v[34:35], v[80:81], -v[115:116]
	;; [unrolled: 1-line block ×5, first 2 shown]
	v_add_f64 v[28:29], v[28:29], v[66:67]
	v_fma_f64 v[30:31], v[30:31], -0.5, v[4:5]
	v_fma_f64 v[4:5], v[76:77], -0.5, v[4:5]
	v_add_f64 v[66:67], v[6:7], v[38:39]
	v_add_f64 v[84:85], v[62:63], -v[56:57]
	v_add_f64 v[70:71], v[70:71], -v[78:79]
	v_add_f64 v[82:83], v[26:27], v[16:17]
	v_add_f64 v[74:75], v[74:75], v[80:81]
	;; [unrolled: 1-line block ×3, first 2 shown]
	v_fma_f64 v[62:63], v[32:33], s[14:15], v[30:31]
	v_fma_f64 v[30:31], v[32:33], s[8:9], v[30:31]
	;; [unrolled: 1-line block ×4, first 2 shown]
	v_add_f64 v[66:67], v[66:67], v[26:27]
	v_add_f64 v[64:65], v[64:65], v[84:85]
	v_add_f64 v[58:59], v[58:59], -v[60:61]
	v_add_f64 v[56:57], v[28:29], v[56:57]
	v_fma_f64 v[28:29], v[34:35], s[16:17], v[62:63]
	v_fma_f64 v[30:31], v[34:35], s[4:5], v[30:31]
	v_add_f64 v[34:35], v[38:39], v[22:23]
	v_fma_f64 v[78:79], v[32:33], s[16:17], v[78:79]
	v_fma_f64 v[4:5], v[32:33], s[4:5], v[4:5]
	v_add_f64 v[60:61], v[38:39], -v[26:27]
	v_add_f64 v[80:81], v[22:23], -v[16:17]
	v_add_f64 v[32:33], v[66:67], v[16:17]
	v_fma_f64 v[76:77], v[82:83], -0.5, v[6:7]
	v_fma_f64 v[66:67], v[74:75], s[6:7], v[28:29]
	v_fma_f64 v[6:7], v[34:35], -0.5, v[6:7]
	v_fma_f64 v[78:79], v[64:65], s[6:7], v[78:79]
	v_fma_f64 v[64:65], v[64:65], s[6:7], v[4:5]
	v_add_f64 v[4:5], v[12:13], v[10:11]
	v_add_f64 v[60:61], v[60:61], v[80:81]
	;; [unrolled: 1-line block ×4, first 2 shown]
	v_fma_f64 v[74:75], v[74:75], s[6:7], v[30:31]
	v_fma_f64 v[28:29], v[70:71], s[8:9], v[76:77]
	;; [unrolled: 1-line block ×3, first 2 shown]
	v_add_f64 v[26:27], v[26:27], -v[38:39]
	v_add_f64 v[16:17], v[16:17], -v[22:23]
	v_add_f64 v[22:23], v[0:1], v[8:9]
	v_fma_f64 v[4:5], v[4:5], -0.5, v[0:1]
	v_add_f64 v[20:21], v[20:21], -v[24:25]
	v_add_f64 v[14:15], v[14:15], -v[18:19]
	v_fma_f64 v[0:1], v[32:33], -0.5, v[0:1]
	v_fma_f64 v[24:25], v[58:59], s[4:5], v[28:29]
	v_fma_f64 v[28:29], v[70:71], s[16:17], v[30:31]
	v_add_f64 v[16:17], v[26:27], v[16:17]
	v_add_f64 v[18:19], v[22:23], v[12:13]
	v_add_f64 v[26:27], v[8:9], -v[12:13]
	v_fma_f64 v[22:23], v[20:21], s[14:15], v[4:5]
	v_add_f64 v[30:31], v[2:3], -v[10:11]
	v_fma_f64 v[4:5], v[20:21], s[8:9], v[4:5]
	v_fma_f64 v[62:63], v[70:71], s[14:15], v[76:77]
	;; [unrolled: 1-line block ×3, first 2 shown]
	v_add_f64 v[8:9], v[12:13], -v[8:9]
	v_add_f64 v[12:13], v[10:11], -v[2:3]
	v_fma_f64 v[0:1], v[14:15], s[14:15], v[0:1]
	v_fma_f64 v[6:7], v[58:59], s[14:15], v[6:7]
	v_add_f64 v[10:11], v[18:19], v[10:11]
	v_fma_f64 v[18:19], v[14:15], s[16:17], v[22:23]
	v_add_f64 v[22:23], v[26:27], v[30:31]
	v_fma_f64 v[4:5], v[14:15], s[4:5], v[4:5]
	v_fma_f64 v[62:63], v[58:59], s[16:17], v[62:63]
	;; [unrolled: 1-line block ×3, first 2 shown]
	v_add_f64 v[8:9], v[8:9], v[12:13]
	v_fma_f64 v[0:1], v[20:21], s[4:5], v[0:1]
	v_fma_f64 v[6:7], v[70:71], s[4:5], v[6:7]
	s_waitcnt lgkmcnt(0)
	v_fma_f64 v[76:77], v[22:23], s[6:7], v[18:19]
	v_fma_f64 v[82:83], v[22:23], s[6:7], v[4:5]
	v_add_u32_e32 v5, 0x800, v117
	s_barrier
	ds_read2_b64 v[20:23], v5 offset0:169 offset1:254
	v_add_u32_e32 v5, 0x1000, v117
	v_fma_f64 v[62:63], v[60:61], s[6:7], v[62:63]
	v_fma_f64 v[58:59], v[60:61], s[6:7], v[24:25]
	;; [unrolled: 1-line block ×3, first 2 shown]
	ds_read2_b64 v[28:31], v5 offset0:83 offset1:168
	v_add_u32_e32 v5, 0x1400, v117
	ds_read2_b64 v[32:35], v5 offset0:125 offset1:210
	v_add_u32_e32 v5, 0x1800, v117
	v_add_u32_e32 v4, 0x400, v117
	ds_read2_b64 v[24:27], v5 offset0:167 offset1:252
	v_add_u32_e32 v5, 0x2000, v117
	v_add_f64 v[70:71], v[10:11], v[2:3]
	v_fma_f64 v[84:85], v[8:9], s[6:7], v[14:15]
	v_fma_f64 v[86:87], v[8:9], s[6:7], v[0:1]
	ds_read2_b64 v[8:11], v4 offset0:42 offset1:212
	v_lshl_add_u32 v4, v102, 3, 0
	ds_read2_b64 v[12:15], v5 offset0:81 offset1:166
	v_add_u32_e32 v5, 0x2400, v117
	v_fma_f64 v[6:7], v[16:17], s[6:7], v[6:7]
	ds_read2_b64 v[0:3], v117 offset1:85
	ds_read_b64 v[38:39], v4 offset:2040
	ds_read2_b64 v[16:19], v5 offset0:123 offset1:208
	s_waitcnt lgkmcnt(0)
	s_barrier
	ds_write2_b64 v69, v[56:57], v[66:67] offset1:17
	ds_write2_b64 v69, v[78:79], v[64:65] offset0:34 offset1:51
	ds_write_b64 v69, v[74:75] offset:544
	ds_write2_b64 v72, v[80:81], v[62:63] offset1:17
	ds_write2_b64 v72, v[60:61], v[6:7] offset0:34 offset1:51
	ds_write_b64 v72, v[58:59] offset:544
	;; [unrolled: 3-line block ×3, first 2 shown]
	s_and_saveexec_b64 s[4:5], vcc
	s_cbranch_execz .LBB0_21
; %bb.20:
	v_add_f64 v[5:6], v[44:45], v[42:43]
	v_add_f64 v[52:53], v[52:53], -v[54:55]
	v_add_f64 v[54:55], v[40:41], v[46:47]
	v_add_f64 v[56:57], v[36:37], v[40:41]
	v_add_f64 v[48:49], v[48:49], -v[50:51]
	s_mov_b32 s6, 0x134454ff
	s_mov_b32 s7, 0xbfee6f0e
	v_add_f64 v[50:51], v[40:41], -v[44:45]
	v_fma_f64 v[5:6], v[5:6], -0.5, v[36:37]
	s_mov_b32 s15, 0x3fee6f0e
	v_fma_f64 v[36:37], v[54:55], -0.5, v[36:37]
	v_add_f64 v[54:55], v[46:47], -v[42:43]
	v_add_f64 v[40:41], v[44:45], -v[40:41]
	v_add_f64 v[44:45], v[56:57], v[44:45]
	s_mov_b32 s14, s6
	v_add_f64 v[58:59], v[42:43], -v[46:47]
	v_fma_f64 v[56:57], v[52:53], s[6:7], v[5:6]
	v_fma_f64 v[5:6], v[52:53], s[14:15], v[5:6]
	;; [unrolled: 1-line block ×4, first 2 shown]
	s_mov_b32 s8, 0x4755a5e
	s_mov_b32 s9, 0xbfe2cf23
	v_add_f64 v[50:51], v[50:51], v[54:55]
	v_add_f64 v[42:43], v[44:45], v[42:43]
	v_fma_f64 v[44:45], v[48:49], s[8:9], v[56:57]
	s_mov_b32 s7, 0x3fe2cf23
	s_mov_b32 s6, s8
	v_fma_f64 v[54:55], v[52:53], s[8:9], v[60:61]
	v_add_f64 v[40:41], v[40:41], v[58:59]
	v_fma_f64 v[36:37], v[52:53], s[6:7], v[36:37]
	v_fma_f64 v[5:6], v[48:49], s[6:7], v[5:6]
	s_mov_b32 s6, 0x372fe950
	s_mov_b32 s7, 0x3fd3c6ef
	v_add_f64 v[42:43], v[42:43], v[46:47]
	v_fma_f64 v[44:45], v[50:51], s[6:7], v[44:45]
	v_mul_lo_u16_e32 v7, 0x55, v118
	v_fma_f64 v[46:47], v[40:41], s[6:7], v[54:55]
	v_fma_f64 v[36:37], v[40:41], s[6:7], v[36:37]
	;; [unrolled: 1-line block ×3, first 2 shown]
	v_lshlrev_b32_e32 v7, 3, v7
	v_add3_u32 v7, 0, v68, v7
	ds_write2_b64 v7, v[42:43], v[44:45] offset1:17
	ds_write2_b64 v7, v[46:47], v[36:37] offset0:34 offset1:51
	ds_write_b64 v7, v[5:6] offset:544
.LBB0_21:
	s_or_b64 exec, exec, s[4:5]
	s_waitcnt lgkmcnt(0)
	s_barrier
	s_and_saveexec_b64 s[4:5], s[0:1]
	s_cbranch_execz .LBB0_23
; %bb.22:
	v_lshlrev_b32_e32 v5, 4, v102
	v_mov_b32_e32 v6, 0
	v_lshlrev_b64 v[5:6], 4, v[5:6]
	v_mov_b32_e32 v7, s13
	v_add_co_u32_e32 v5, vcc, s12, v5
	v_addc_co_u32_e32 v6, vcc, v7, v6, vcc
	global_load_dwordx4 v[44:47], v[5:6], off offset:1200
	global_load_dwordx4 v[48:51], v[5:6], off offset:1216
	;; [unrolled: 1-line block ×16, first 2 shown]
	v_add_u32_e32 v64, 0x1000, v117
	v_mul_lo_u32 v40, s3, v100
	v_mul_lo_u32 v41, s2, v101
	v_mad_u64_u32 v[42:43], s[0:1], s2, v100, 0
	v_add_u32_e32 v68, 0x1400, v117
	v_add_u32_e32 v69, 0x800, v117
	;; [unrolled: 1-line block ×5, first 2 shown]
	ds_read_b64 v[36:37], v4 offset:2040
	v_add_u32_e32 v85, 0x2400, v117
	ds_read2_b64 v[4:7], v117 offset1:85
	ds_read2_b64 v[64:67], v64 offset0:83 offset1:168
	ds_read2_b64 v[80:83], v68 offset0:125 offset1:210
	;; [unrolled: 1-line block ×7, first 2 shown]
	v_add3_u32 v43, v43, v41, v40
	s_mov_b32 s2, 0x7faef3
	s_mov_b32 s3, 0xbfef7484
	;; [unrolled: 1-line block ×48, first 2 shown]
	s_movk_i32 s52, 0x1000
	s_movk_i32 s33, 0x2000
	s_waitcnt vmcnt(15)
	v_mul_f64 v[40:41], v[30:31], v[46:47]
	s_waitcnt vmcnt(14)
	v_mul_f64 v[68:69], v[32:33], v[50:51]
	s_waitcnt lgkmcnt(6)
	v_mul_f64 v[46:47], v[66:67], v[46:47]
	s_waitcnt lgkmcnt(5)
	v_mul_f64 v[50:51], v[80:81], v[50:51]
	s_waitcnt vmcnt(13)
	v_mul_f64 v[84:85], v[28:29], v[54:55]
	v_mul_f64 v[54:55], v[64:65], v[54:55]
	s_waitcnt vmcnt(12)
	v_mul_f64 v[94:95], v[34:35], v[58:59]
	s_waitcnt vmcnt(8)
	v_mul_f64 v[134:135], v[26:27], v[92:93]
	v_mul_f64 v[100:101], v[22:23], v[62:63]
	s_waitcnt vmcnt(6)
	v_mul_f64 v[164:165], v[12:13], v[108:109]
	s_waitcnt lgkmcnt(1)
	v_mul_f64 v[108:109], v[130:131], v[108:109]
	v_mul_f64 v[118:119], v[24:25], v[72:73]
	;; [unrolled: 1-line block ×4, first 2 shown]
	s_waitcnt vmcnt(1)
	v_mul_f64 v[174:175], v[2:3], v[152:153]
	s_waitcnt vmcnt(0)
	v_mul_f64 v[176:177], v[18:19], v[156:157]
	v_mul_f64 v[128:129], v[20:21], v[78:79]
	;; [unrolled: 1-line block ×5, first 2 shown]
	v_fma_f64 v[72:73], v[66:67], v[44:45], v[40:41]
	v_fma_f64 v[66:67], v[80:81], v[48:49], v[68:69]
	v_fma_f64 v[74:75], v[30:31], v[44:45], -v[46:47]
	v_fma_f64 v[68:69], v[32:33], v[48:49], -v[50:51]
	v_fma_f64 v[78:79], v[64:65], v[52:53], v[84:85]
	v_fma_f64 v[80:81], v[28:29], v[52:53], -v[54:55]
	v_fma_f64 v[52:53], v[116:117], v[90:91], v[134:135]
	;; [unrolled: 2-line block ×3, first 2 shown]
	s_waitcnt lgkmcnt(0)
	v_fma_f64 v[44:45], v[160:161], v[154:155], v[176:177]
	v_mul_f64 v[6:7], v[6:7], v[152:153]
	v_mul_f64 v[12:13], v[160:161], v[156:157]
	;; [unrolled: 1-line block ×7, first 2 shown]
	v_fma_f64 v[62:63], v[82:83], v[56:57], v[94:95]
	v_fma_f64 v[82:83], v[88:89], v[60:61], v[100:101]
	v_fma_f64 v[84:85], v[22:23], v[60:61], -v[124:125]
	v_fma_f64 v[88:89], v[20:21], v[76:77], -v[136:137]
	v_fma_f64 v[48:49], v[130:131], v[106:107], v[164:165]
	v_fma_f64 v[130:131], v[120:121], v[142:143], v[170:171]
	;; [unrolled: 1-line block ×3, first 2 shown]
	v_mul_f64 v[20:21], v[120:121], v[144:145]
	v_mul_f64 v[22:23], v[158:159], v[148:149]
	v_add_f64 v[172:173], v[134:135], v[44:45]
	v_fma_f64 v[136:137], v[2:3], v[150:151], -v[6:7]
	v_fma_f64 v[2:3], v[18:19], v[154:155], -v[12:13]
	;; [unrolled: 1-line block ×3, first 2 shown]
	v_fma_f64 v[56:57], v[114:115], v[70:71], v[118:119]
	v_fma_f64 v[58:59], v[24:25], v[70:71], -v[126:127]
	v_fma_f64 v[118:119], v[36:37], v[110:111], v[166:167]
	v_fma_f64 v[46:47], v[132:133], v[138:139], v[168:169]
	v_fma_f64 v[104:105], v[10:11], v[102:103], -v[104:105]
	v_mul_f64 v[10:11], v[36:37], v[112:113]
	v_mul_f64 v[6:7], v[132:133], v[140:141]
	v_add_f64 v[170:171], v[130:131], v[60:61]
	v_fma_f64 v[132:133], v[8:9], v[142:143], -v[20:21]
	v_fma_f64 v[70:71], v[16:17], v[146:147], -v[22:23]
	v_mul_f64 v[8:9], v[172:173], s[2:3]
	v_add_f64 v[120:121], v[136:137], -v[2:3]
	v_fma_f64 v[86:87], v[86:87], v[76:77], v[128:129]
	v_fma_f64 v[100:101], v[122:123], v[102:103], v[162:163]
	v_add_f64 v[168:169], v[118:119], v[46:47]
	v_fma_f64 v[128:129], v[38:39], v[110:111], -v[10:11]
	v_fma_f64 v[76:77], v[14:15], v[138:139], -v[6:7]
	v_mul_f64 v[6:7], v[170:171], s[8:9]
	v_add_f64 v[112:113], v[132:133], -v[70:71]
	v_fma_f64 v[10:11], v[120:121], s[22:23], v[8:9]
	v_mul_f64 v[92:93], v[116:117], v[92:93]
	v_add_f64 v[162:163], v[100:101], v[48:49]
	v_mul_f64 v[12:13], v[168:169], s[4:5]
	v_add_f64 v[126:127], v[86:87], v[52:53]
	v_add_f64 v[114:115], v[128:129], -v[76:77]
	v_add_f64 v[110:111], v[104:105], -v[50:51]
	v_fma_f64 v[14:15], v[112:113], s[18:19], v[6:7]
	v_add_f64 v[10:11], v[4:5], v[10:11]
	v_fma_f64 v[54:55], v[26:27], v[90:91], -v[92:93]
	v_mul_f64 v[16:17], v[162:163], s[14:15]
	v_add_f64 v[122:123], v[82:83], v[56:57]
	v_add_f64 v[102:103], v[84:85], -v[58:59]
	v_fma_f64 v[18:19], v[114:115], s[30:31], v[12:13]
	v_add_f64 v[158:159], v[134:135], -v[44:45]
	v_add_f64 v[154:155], v[130:131], -v[60:61]
	v_add_f64 v[10:11], v[14:15], v[10:11]
	v_mul_f64 v[14:15], v[126:127], s[6:7]
	v_add_f64 v[106:107], v[88:89], -v[54:55]
	v_fma_f64 v[20:21], v[110:111], s[20:21], v[16:17]
	v_add_f64 v[150:151], v[136:137], v[2:3]
	v_add_f64 v[160:161], v[118:119], -v[46:47]
	v_add_f64 v[152:153], v[132:133], v[70:71]
	v_mul_f64 v[28:29], v[154:155], s[46:47]
	v_add_f64 v[10:11], v[18:19], v[10:11]
	v_mul_f64 v[18:19], v[122:123], s[16:17]
	v_fma_f64 v[22:23], v[106:107], s[36:37], v[14:15]
	v_fma_f64 v[8:9], v[120:121], s[34:35], v[8:9]
	v_add_f64 v[166:167], v[100:101], -v[48:49]
	v_add_f64 v[148:149], v[128:129], v[76:77]
	v_mul_f64 v[32:33], v[160:161], s[38:39]
	v_fma_f64 v[34:35], v[152:153], s[8:9], v[28:29]
	v_add_f64 v[10:11], v[20:21], v[10:11]
	v_fma_f64 v[24:25], v[102:103], s[26:27], v[18:19]
	v_fma_f64 v[6:7], v[112:113], s[46:47], v[6:7]
	v_add_f64 v[8:9], v[4:5], v[8:9]
	v_add_f64 v[164:165], v[86:87], -v[52:53]
	v_add_f64 v[146:147], v[104:105], v[50:51]
	v_mul_f64 v[36:37], v[166:167], s[50:51]
	v_fma_f64 v[38:39], v[148:149], s[4:5], v[32:33]
	v_add_f64 v[10:11], v[22:23], v[10:11]
	v_fma_f64 v[12:13], v[114:115], s[38:39], v[12:13]
	v_add_f64 v[156:157], v[82:83], -v[56:57]
	v_add_f64 v[6:7], v[6:7], v[8:9]
	v_add_f64 v[144:145], v[88:89], v[54:55]
	v_fma_f64 v[28:29], v[152:153], s[8:9], -v[28:29]
	v_fma_f64 v[40:41], v[146:147], s[14:15], v[36:37]
	v_fma_f64 v[16:17], v[110:111], s[50:51], v[16:17]
	v_add_f64 v[10:11], v[24:25], v[10:11]
	v_mul_f64 v[24:25], v[158:159], s[34:35]
	v_add_f64 v[116:117], v[78:79], v[62:63]
	v_add_f64 v[6:7], v[12:13], v[6:7]
	v_add_f64 v[142:143], v[78:79], -v[62:63]
	v_add_f64 v[140:141], v[84:85], v[58:59]
	v_mul_f64 v[8:9], v[156:157], s[48:49]
	v_fma_f64 v[32:33], v[148:149], s[4:5], -v[32:33]
	v_fma_f64 v[14:15], v[106:107], s[40:41], v[14:15]
	v_fma_f64 v[30:31], v[150:151], s[2:3], v[24:25]
	v_fma_f64 v[24:25], v[150:151], s[2:3], -v[24:25]
	v_add_f64 v[6:7], v[16:17], v[6:7]
	v_add_f64 v[92:93], v[72:73], v[66:67]
	v_mul_f64 v[20:21], v[116:117], s[12:13]
	v_add_f64 v[94:95], v[80:81], -v[64:65]
	v_add_f64 v[138:139], v[72:73], -v[66:67]
	v_add_f64 v[124:125], v[80:81], v[64:65]
	v_add_f64 v[30:31], v[0:1], v[30:31]
	;; [unrolled: 1-line block ×3, first 2 shown]
	v_mul_f64 v[12:13], v[142:143], s[28:29]
	v_fma_f64 v[36:37], v[146:147], s[14:15], -v[36:37]
	v_fma_f64 v[18:19], v[102:103], s[48:49], v[18:19]
	v_add_f64 v[6:7], v[14:15], v[6:7]
	v_mul_f64 v[22:23], v[92:93], s[0:1]
	v_add_f64 v[90:91], v[74:75], -v[68:69]
	v_add_f64 v[30:31], v[34:35], v[30:31]
	v_mul_f64 v[34:35], v[164:165], s[40:41]
	v_add_f64 v[24:25], v[28:29], v[24:25]
	v_fma_f64 v[26:27], v[94:95], s[42:43], v[20:21]
	v_add_f64 v[108:109], v[74:75], v[68:69]
	v_mul_f64 v[16:17], v[138:139], s[44:45]
	v_fma_f64 v[20:21], v[94:95], s[28:29], v[20:21]
	v_add_f64 v[18:19], v[18:19], v[6:7]
	v_add_f64 v[30:31], v[38:39], v[30:31]
	v_fma_f64 v[38:39], v[144:145], s[6:7], v[34:35]
	v_add_f64 v[24:25], v[32:33], v[24:25]
	v_fma_f64 v[32:33], v[124:125], s[12:13], v[12:13]
	v_fma_f64 v[34:35], v[144:145], s[6:7], -v[34:35]
	v_fma_f64 v[14:15], v[90:91], s[24:25], v[22:23]
	v_add_f64 v[10:11], v[26:27], v[10:11]
	v_fma_f64 v[26:27], v[108:109], s[0:1], v[16:17]
	v_add_f64 v[28:29], v[40:41], v[30:31]
	;; [unrolled: 2-line block ×3, first 2 shown]
	v_add_f64 v[18:19], v[20:21], v[18:19]
	v_mul_f64 v[20:21], v[172:173], s[4:5]
	v_mul_f64 v[174:175], v[168:169], s[0:1]
	;; [unrolled: 1-line block ×4, first 2 shown]
	v_add_f64 v[28:29], v[38:39], v[28:29]
	v_mul_f64 v[38:39], v[154:155], s[48:49]
	v_add_f64 v[24:25], v[34:35], v[24:25]
	v_mul_f64 v[34:35], v[126:127], s[8:9]
	v_mul_f64 v[188:189], v[166:167], s[36:37]
	v_fma_f64 v[186:187], v[114:115], s[44:45], v[174:175]
	v_fma_f64 v[174:175], v[114:115], s[24:25], v[174:175]
	;; [unrolled: 1-line block ×3, first 2 shown]
	v_add_f64 v[28:29], v[30:31], v[28:29]
	v_fma_f64 v[30:31], v[140:141], s[16:17], -v[8:9]
	v_add_f64 v[8:9], v[14:15], v[10:11]
	v_fma_f64 v[10:11], v[124:125], s[12:13], -v[12:13]
	v_fma_f64 v[184:185], v[152:153], s[16:17], v[38:39]
	v_fma_f64 v[38:39], v[152:153], s[16:17], -v[38:39]
	v_fma_f64 v[180:181], v[106:107], s[46:47], v[34:35]
	v_fma_f64 v[34:35], v[106:107], s[18:19], v[34:35]
	v_add_f64 v[28:29], v[32:33], v[28:29]
	v_add_f64 v[12:13], v[30:31], v[24:25]
	v_fma_f64 v[30:31], v[120:121], s[30:31], v[20:21]
	v_fma_f64 v[20:21], v[120:121], s[38:39], v[20:21]
	v_fma_f64 v[24:25], v[108:109], s[0:1], -v[16:17]
	v_mul_f64 v[16:17], v[122:123], s[2:3]
	v_fma_f64 v[14:15], v[90:91], s[44:45], v[22:23]
	v_mul_f64 v[22:23], v[116:117], s[14:15]
	v_add_f64 v[6:7], v[26:27], v[28:29]
	v_mul_f64 v[28:29], v[170:171], s[16:17]
	v_add_f64 v[10:11], v[10:11], v[12:13]
	v_mul_f64 v[12:13], v[158:159], s[38:39]
	v_add_f64 v[30:31], v[4:5], v[30:31]
	v_add_f64 v[20:21], v[4:5], v[20:21]
	v_fma_f64 v[36:37], v[102:103], s[22:23], v[16:17]
	v_fma_f64 v[16:17], v[102:103], s[34:35], v[16:17]
	v_mul_f64 v[26:27], v[92:93], s[12:13]
	v_fma_f64 v[176:177], v[112:113], s[26:27], v[28:29]
	v_fma_f64 v[28:29], v[112:113], s[48:49], v[28:29]
	;; [unrolled: 1-line block ×3, first 2 shown]
	v_fma_f64 v[12:13], v[150:151], s[4:5], -v[12:13]
	v_fma_f64 v[32:33], v[94:95], s[20:21], v[22:23]
	v_mul_f64 v[194:195], v[160:161], s[18:19]
	v_fma_f64 v[22:23], v[94:95], s[50:51], v[22:23]
	v_mul_f64 v[200:201], v[166:167], s[26:27]
	v_add_f64 v[30:31], v[176:177], v[30:31]
	v_fma_f64 v[176:177], v[110:111], s[40:41], v[178:179]
	v_add_f64 v[40:41], v[0:1], v[40:41]
	v_add_f64 v[12:13], v[0:1], v[12:13]
	;; [unrolled: 1-line block ×3, first 2 shown]
	v_fma_f64 v[178:179], v[110:111], s[36:37], v[178:179]
	v_fma_f64 v[198:199], v[148:149], s[8:9], v[194:195]
	v_mul_f64 v[204:205], v[164:165], s[26:27]
	v_add_f64 v[30:31], v[186:187], v[30:31]
	v_fma_f64 v[186:187], v[146:147], s[6:7], v[188:189]
	v_add_f64 v[40:41], v[184:185], v[40:41]
	v_add_f64 v[12:13], v[38:39], v[12:13]
	v_mul_f64 v[184:185], v[164:165], s[18:19]
	v_add_f64 v[20:21], v[174:175], v[20:21]
	v_fma_f64 v[174:175], v[146:147], s[6:7], -v[188:189]
	v_mul_f64 v[38:39], v[156:157], s[34:35]
	v_add_f64 v[28:29], v[176:177], v[30:31]
	v_fma_f64 v[30:31], v[148:149], s[0:1], -v[182:183]
	v_add_f64 v[40:41], v[190:191], v[40:41]
	v_fma_f64 v[208:209], v[144:145], s[16:17], v[204:205]
	v_fma_f64 v[176:177], v[144:145], s[8:9], v[184:185]
	v_add_f64 v[20:21], v[178:179], v[20:21]
	v_mul_f64 v[212:213], v[164:165], s[50:51]
	v_mul_f64 v[228:229], v[160:161], s[40:41]
	v_add_f64 v[28:29], v[180:181], v[28:29]
	v_add_f64 v[12:13], v[30:31], v[12:13]
	;; [unrolled: 1-line block ×3, first 2 shown]
	v_mul_f64 v[30:31], v[142:143], s[50:51]
	v_fma_f64 v[180:181], v[140:141], s[2:3], v[38:39]
	v_add_f64 v[20:21], v[34:35], v[20:21]
	v_fma_f64 v[38:39], v[140:141], s[2:3], -v[38:39]
	v_fma_f64 v[34:35], v[90:91], s[42:43], v[26:27]
	v_add_f64 v[28:29], v[36:37], v[28:29]
	v_fma_f64 v[36:37], v[144:145], s[8:9], -v[184:185]
	v_add_f64 v[12:13], v[174:175], v[12:13]
	v_add_f64 v[40:41], v[176:177], v[40:41]
	v_fma_f64 v[176:177], v[124:125], s[14:15], v[30:31]
	v_add_f64 v[20:21], v[16:17], v[20:21]
	v_add_f64 v[16:17], v[14:15], v[18:19]
	v_fma_f64 v[18:19], v[124:125], s[14:15], -v[30:31]
	v_mul_f64 v[174:175], v[138:139], s[28:29]
	v_add_f64 v[28:29], v[32:33], v[28:29]
	v_add_f64 v[12:13], v[36:37], v[12:13]
	;; [unrolled: 1-line block ×4, first 2 shown]
	v_fma_f64 v[24:25], v[90:91], s[28:29], v[26:27]
	v_mul_f64 v[186:187], v[154:155], s[42:43]
	v_mul_f64 v[180:181], v[168:169], s[8:9]
	v_fma_f64 v[32:33], v[108:109], s[12:13], v[174:175]
	v_fma_f64 v[26:27], v[108:109], s[12:13], -v[174:175]
	v_add_f64 v[30:31], v[38:39], v[12:13]
	v_add_f64 v[36:37], v[176:177], v[40:41]
	v_mul_f64 v[40:41], v[158:159], s[40:41]
	v_mul_f64 v[174:175], v[170:171], s[12:13]
	v_fma_f64 v[196:197], v[152:153], s[12:13], v[186:187]
	v_fma_f64 v[192:193], v[114:115], s[46:47], v[180:181]
	v_fma_f64 v[186:187], v[152:153], s[12:13], -v[186:187]
	v_add_f64 v[12:13], v[34:35], v[28:29]
	v_add_f64 v[18:19], v[18:19], v[30:31]
	v_mul_f64 v[30:31], v[172:173], s[6:7]
	v_fma_f64 v[188:189], v[150:151], s[6:7], v[40:41]
	v_fma_f64 v[190:191], v[112:113], s[28:29], v[174:175]
	v_fma_f64 v[40:41], v[150:151], s[6:7], -v[40:41]
	v_add_f64 v[10:11], v[32:33], v[36:37]
	v_mul_f64 v[36:37], v[162:163], s[4:5]
	v_fma_f64 v[174:175], v[112:113], s[42:43], v[174:175]
	v_mul_f64 v[34:35], v[126:127], s[0:1]
	v_fma_f64 v[178:179], v[120:121], s[36:37], v[30:31]
	v_fma_f64 v[30:31], v[120:121], s[40:41], v[30:31]
	v_add_f64 v[188:189], v[0:1], v[188:189]
	v_add_f64 v[40:41], v[0:1], v[40:41]
	v_fma_f64 v[180:181], v[114:115], s[18:19], v[180:181]
	v_fma_f64 v[184:185], v[110:111], s[30:31], v[36:37]
	v_mul_f64 v[28:29], v[122:123], s[14:15]
	v_fma_f64 v[182:183], v[106:107], s[24:25], v[34:35]
	v_add_f64 v[178:179], v[4:5], v[178:179]
	v_add_f64 v[30:31], v[4:5], v[30:31]
	;; [unrolled: 1-line block ×4, first 2 shown]
	v_mul_f64 v[186:187], v[164:165], s[44:45]
	v_fma_f64 v[36:37], v[110:111], s[38:39], v[36:37]
	v_add_f64 v[20:21], v[22:23], v[20:21]
	v_mul_f64 v[22:23], v[116:117], s[2:3]
	v_add_f64 v[178:179], v[190:191], v[178:179]
	v_mul_f64 v[190:191], v[166:167], s[38:39]
	v_add_f64 v[30:31], v[174:175], v[30:31]
	v_add_f64 v[188:189], v[198:199], v[188:189]
	v_fma_f64 v[176:177], v[102:103], s[50:51], v[28:29]
	v_fma_f64 v[34:35], v[106:107], s[44:45], v[34:35]
	v_mul_f64 v[32:33], v[92:93], s[16:17]
	v_fma_f64 v[38:39], v[94:95], s[22:23], v[22:23]
	v_add_f64 v[174:175], v[192:193], v[178:179]
	v_fma_f64 v[178:179], v[148:149], s[8:9], -v[194:195]
	v_fma_f64 v[192:193], v[146:147], s[4:5], v[190:191]
	v_add_f64 v[30:31], v[180:181], v[30:31]
	v_fma_f64 v[180:181], v[146:147], s[4:5], -v[190:191]
	v_fma_f64 v[28:29], v[102:103], s[20:21], v[28:29]
	v_fma_f64 v[22:23], v[94:95], s[34:35], v[22:23]
	v_add_f64 v[24:25], v[24:25], v[20:21]
	v_add_f64 v[174:175], v[184:185], v[174:175]
	;; [unrolled: 1-line block ×3, first 2 shown]
	v_mul_f64 v[178:179], v[156:157], s[20:21]
	v_fma_f64 v[184:185], v[144:145], s[0:1], v[186:187]
	v_add_f64 v[188:189], v[192:193], v[188:189]
	v_add_f64 v[30:31], v[36:37], v[30:31]
	v_mul_f64 v[196:197], v[160:161], s[50:51]
	v_mul_f64 v[192:193], v[162:163], s[16:17]
	v_add_f64 v[36:37], v[182:183], v[174:175]
	v_fma_f64 v[174:175], v[144:145], s[0:1], -v[186:187]
	v_add_f64 v[40:41], v[180:181], v[40:41]
	v_mul_f64 v[180:181], v[142:143], s[34:35]
	v_fma_f64 v[182:183], v[140:141], s[14:15], v[178:179]
	v_add_f64 v[184:185], v[184:185], v[188:189]
	v_add_f64 v[30:31], v[34:35], v[30:31]
	v_mul_f64 v[186:187], v[154:155], s[30:31]
	v_add_f64 v[34:35], v[176:177], v[36:37]
	v_fma_f64 v[36:37], v[140:141], s[14:15], -v[178:179]
	v_add_f64 v[40:41], v[174:175], v[40:41]
	v_mul_f64 v[174:175], v[138:139], s[48:49]
	v_fma_f64 v[176:177], v[124:125], s[2:3], v[180:181]
	v_add_f64 v[178:179], v[182:183], v[184:185]
	v_add_f64 v[28:29], v[28:29], v[30:31]
	v_fma_f64 v[30:31], v[90:91], s[26:27], v[32:33]
	v_fma_f64 v[180:181], v[124:125], s[2:3], -v[180:181]
	v_add_f64 v[34:35], v[38:39], v[34:35]
	v_add_f64 v[36:37], v[36:37], v[40:41]
	v_fma_f64 v[38:39], v[108:109], s[16:17], v[174:175]
	v_fma_f64 v[174:175], v[108:109], s[16:17], -v[174:175]
	v_add_f64 v[40:41], v[176:177], v[178:179]
	v_add_f64 v[28:29], v[22:23], v[28:29]
	v_add_f64 v[22:23], v[26:27], v[18:19]
	v_mul_f64 v[182:183], v[168:169], s[14:15]
	v_add_f64 v[20:21], v[30:31], v[34:35]
	v_add_f64 v[36:37], v[180:181], v[36:37]
	v_mul_f64 v[30:31], v[172:173], s[12:13]
	v_fma_f64 v[198:199], v[152:153], s[4:5], v[186:187]
	v_add_f64 v[18:19], v[38:39], v[40:41]
	v_mul_f64 v[40:41], v[158:159], s[28:29]
	v_fma_f64 v[202:203], v[148:149], s[14:15], v[196:197]
	v_fma_f64 v[194:195], v[114:115], s[20:21], v[182:183]
	v_mul_f64 v[176:177], v[126:127], s[2:3]
	v_add_f64 v[26:27], v[174:175], v[36:37]
	v_mul_f64 v[36:37], v[170:171], s[4:5]
	v_fma_f64 v[174:175], v[120:121], s[42:43], v[30:31]
	v_fma_f64 v[30:31], v[120:121], s[28:29], v[30:31]
	;; [unrolled: 1-line block ×3, first 2 shown]
	v_fma_f64 v[40:41], v[150:151], s[12:13], -v[40:41]
	v_fma_f64 v[182:183], v[114:115], s[50:51], v[182:183]
	v_fma_f64 v[32:33], v[90:91], s[48:49], v[32:33]
	v_mul_f64 v[34:35], v[122:123], s[0:1]
	v_fma_f64 v[184:185], v[112:113], s[38:39], v[36:37]
	v_add_f64 v[174:175], v[4:5], v[174:175]
	v_fma_f64 v[36:37], v[112:113], s[30:31], v[36:37]
	v_add_f64 v[188:189], v[0:1], v[188:189]
	v_add_f64 v[30:31], v[4:5], v[30:31]
	;; [unrolled: 1-line block ×3, first 2 shown]
	v_fma_f64 v[190:191], v[106:107], s[22:23], v[176:177]
	v_add_f64 v[28:29], v[32:33], v[28:29]
	v_mul_f64 v[32:33], v[116:117], s[8:9]
	v_add_f64 v[174:175], v[184:185], v[174:175]
	v_fma_f64 v[184:185], v[110:111], s[48:49], v[192:193]
	v_add_f64 v[188:189], v[198:199], v[188:189]
	v_add_f64 v[30:31], v[36:37], v[30:31]
	v_fma_f64 v[36:37], v[152:153], s[4:5], -v[186:187]
	v_mul_f64 v[186:187], v[164:165], s[34:35]
	v_fma_f64 v[180:181], v[102:103], s[24:25], v[34:35]
	v_fma_f64 v[176:177], v[106:107], s[34:35], v[176:177]
	v_add_f64 v[174:175], v[194:195], v[174:175]
	v_fma_f64 v[194:195], v[146:147], s[16:17], v[200:201]
	v_add_f64 v[188:189], v[202:203], v[188:189]
	v_add_f64 v[30:31], v[182:183], v[30:31]
	v_fma_f64 v[182:183], v[148:149], s[14:15], -v[196:197]
	v_add_f64 v[36:37], v[36:37], v[40:41]
	v_mul_f64 v[40:41], v[156:157], s[44:45]
	v_mul_f64 v[38:39], v[92:93], s[6:7]
	v_add_f64 v[174:175], v[184:185], v[174:175]
	v_fma_f64 v[184:185], v[110:111], s[26:27], v[192:193]
	v_fma_f64 v[192:193], v[144:145], s[2:3], v[186:187]
	v_add_f64 v[188:189], v[194:195], v[188:189]
	v_fma_f64 v[178:179], v[94:95], s[46:47], v[32:33]
	v_add_f64 v[36:37], v[182:183], v[36:37]
	v_mul_f64 v[182:183], v[142:143], s[18:19]
	v_fma_f64 v[34:35], v[102:103], s[44:45], v[34:35]
	v_add_f64 v[174:175], v[190:191], v[174:175]
	v_add_f64 v[30:31], v[184:185], v[30:31]
	v_fma_f64 v[184:185], v[146:147], s[16:17], -v[200:201]
	v_fma_f64 v[190:191], v[140:141], s[0:1], v[40:41]
	v_add_f64 v[188:189], v[192:193], v[188:189]
	v_fma_f64 v[32:33], v[94:95], s[18:19], v[32:33]
	v_mul_f64 v[192:193], v[160:161], s[42:43]
	v_mul_f64 v[200:201], v[166:167], s[46:47]
	v_add_f64 v[174:175], v[180:181], v[174:175]
	v_add_f64 v[30:31], v[176:177], v[30:31]
	v_fma_f64 v[176:177], v[144:145], s[2:3], -v[186:187]
	v_add_f64 v[36:37], v[184:185], v[36:37]
	v_mul_f64 v[180:181], v[138:139], s[40:41]
	v_fma_f64 v[184:185], v[124:125], s[8:9], v[182:183]
	v_add_f64 v[186:187], v[190:191], v[188:189]
	v_fma_f64 v[188:189], v[90:91], s[36:37], v[38:39]
	v_fma_f64 v[38:39], v[90:91], s[40:41], v[38:39]
	v_add_f64 v[30:31], v[34:35], v[30:31]
	v_fma_f64 v[34:35], v[140:141], s[0:1], -v[40:41]
	v_add_f64 v[36:37], v[176:177], v[36:37]
	v_add_f64 v[40:41], v[178:179], v[174:175]
	v_fma_f64 v[174:175], v[108:109], s[6:7], v[180:181]
	v_add_f64 v[176:177], v[184:185], v[186:187]
	v_mul_f64 v[178:179], v[172:173], s[0:1]
	v_fma_f64 v[182:183], v[124:125], s[8:9], -v[182:183]
	v_add_f64 v[184:185], v[32:33], v[30:31]
	v_mul_f64 v[190:191], v[162:163], s[8:9]
	v_add_f64 v[34:35], v[34:35], v[36:37]
	v_add_f64 v[32:33], v[188:189], v[40:41]
	v_mul_f64 v[40:41], v[158:159], s[24:25]
	v_add_f64 v[30:31], v[174:175], v[176:177]
	v_mul_f64 v[174:175], v[170:171], s[2:3]
	v_fma_f64 v[176:177], v[120:121], s[44:45], v[178:179]
	v_add_f64 v[36:37], v[38:39], v[184:185]
	v_fma_f64 v[38:39], v[108:109], s[6:7], -v[180:181]
	v_add_f64 v[34:35], v[182:183], v[34:35]
	v_mul_f64 v[180:181], v[154:155], s[34:35]
	v_fma_f64 v[182:183], v[150:151], s[0:1], v[40:41]
	v_mul_f64 v[184:185], v[168:169], s[12:13]
	v_fma_f64 v[186:187], v[112:113], s[22:23], v[174:175]
	v_add_f64 v[176:177], v[4:5], v[176:177]
	v_fma_f64 v[178:179], v[120:121], s[24:25], v[178:179]
	v_fma_f64 v[198:199], v[110:111], s[18:19], v[190:191]
	;; [unrolled: 1-line block ×4, first 2 shown]
	v_add_f64 v[182:183], v[0:1], v[182:183]
	v_fma_f64 v[196:197], v[114:115], s[28:29], v[184:185]
	v_fma_f64 v[174:175], v[112:113], s[34:35], v[174:175]
	v_add_f64 v[176:177], v[186:187], v[176:177]
	v_mul_f64 v[186:187], v[126:127], s[16:17]
	v_add_f64 v[178:179], v[4:5], v[178:179]
	v_fma_f64 v[206:207], v[146:147], s[8:9], v[200:201]
	v_fma_f64 v[184:185], v[114:115], s[42:43], v[184:185]
	v_add_f64 v[182:183], v[194:195], v[182:183]
	v_mul_f64 v[194:195], v[122:123], s[4:5]
	v_fma_f64 v[190:191], v[110:111], s[46:47], v[190:191]
	v_add_f64 v[176:177], v[196:197], v[176:177]
	v_fma_f64 v[196:197], v[106:107], s[48:49], v[186:187]
	v_add_f64 v[174:175], v[174:175], v[178:179]
	v_mul_f64 v[178:179], v[116:117], s[6:7]
	v_mul_f64 v[188:189], v[92:93], s[14:15]
	v_add_f64 v[182:183], v[202:203], v[182:183]
	v_mul_f64 v[202:203], v[156:157], s[38:39]
	v_fma_f64 v[40:41], v[150:151], s[0:1], -v[40:41]
	v_add_f64 v[176:177], v[198:199], v[176:177]
	v_fma_f64 v[198:199], v[102:103], s[30:31], v[194:195]
	v_add_f64 v[174:175], v[184:185], v[174:175]
	v_fma_f64 v[184:185], v[94:95], s[40:41], v[178:179]
	v_fma_f64 v[186:187], v[106:107], s[26:27], v[186:187]
	v_add_f64 v[182:183], v[206:207], v[182:183]
	v_fma_f64 v[206:207], v[140:141], s[4:5], v[202:203]
	v_fma_f64 v[180:181], v[152:153], s[2:3], -v[180:181]
	v_add_f64 v[176:177], v[196:197], v[176:177]
	v_mul_f64 v[196:197], v[142:143], s[36:37]
	v_add_f64 v[174:175], v[190:191], v[174:175]
	v_mul_f64 v[190:191], v[138:139], s[50:51]
	v_add_f64 v[40:41], v[0:1], v[40:41]
	v_add_f64 v[182:183], v[208:209], v[182:183]
	v_fma_f64 v[194:195], v[102:103], s[38:39], v[194:195]
	v_fma_f64 v[192:193], v[148:149], s[12:13], -v[192:193]
	v_add_f64 v[176:177], v[198:199], v[176:177]
	v_fma_f64 v[198:199], v[124:125], s[6:7], v[196:197]
	v_add_f64 v[174:175], v[186:187], v[174:175]
	v_fma_f64 v[186:187], v[90:91], s[20:21], v[188:189]
	v_add_f64 v[180:181], v[180:181], v[40:41]
	v_add_f64 v[182:183], v[206:207], v[182:183]
	v_fma_f64 v[178:179], v[94:95], s[36:37], v[178:179]
	v_add_f64 v[34:35], v[38:39], v[34:35]
	;; [unrolled: 3-line block ×3, first 2 shown]
	v_mul_f64 v[194:195], v[168:169], s[2:3]
	v_add_f64 v[180:181], v[192:193], v[180:181]
	v_add_f64 v[182:183], v[198:199], v[182:183]
	v_mul_f64 v[198:199], v[154:155], s[40:41]
	v_fma_f64 v[216:217], v[144:145], s[14:15], v[212:213]
	v_add_f64 v[40:41], v[186:187], v[176:177]
	v_mul_f64 v[186:187], v[172:173], s[16:17]
	v_fma_f64 v[176:177], v[146:147], s[8:9], -v[200:201]
	v_add_f64 v[174:175], v[178:179], v[174:175]
	v_fma_f64 v[178:179], v[144:145], s[16:17], -v[204:205]
	v_add_f64 v[38:39], v[184:185], v[182:183]
	v_fma_f64 v[182:183], v[90:91], s[50:51], v[188:189]
	v_mul_f64 v[184:185], v[158:159], s[26:27]
	v_mul_f64 v[188:189], v[170:171], s[6:7]
	v_fma_f64 v[192:193], v[120:121], s[48:49], v[186:187]
	v_add_f64 v[176:177], v[176:177], v[180:181]
	v_fma_f64 v[180:181], v[108:109], s[14:15], -v[190:191]
	v_fma_f64 v[190:191], v[140:141], s[4:5], -v[202:203]
	v_mul_f64 v[204:205], v[160:161], s[22:23]
	v_fma_f64 v[206:207], v[152:153], s[6:7], v[198:199]
	v_fma_f64 v[200:201], v[150:151], s[16:17], v[184:185]
	;; [unrolled: 1-line block ×3, first 2 shown]
	v_add_f64 v[192:193], v[4:5], v[192:193]
	v_add_f64 v[176:177], v[178:179], v[176:177]
	v_fma_f64 v[178:179], v[124:125], s[6:7], -v[196:197]
	v_mul_f64 v[196:197], v[162:163], s[12:13]
	v_fma_f64 v[208:209], v[114:115], s[34:35], v[194:195]
	v_fma_f64 v[186:187], v[120:121], s[26:27], v[186:187]
	v_add_f64 v[200:201], v[0:1], v[200:201]
	v_fma_f64 v[210:211], v[148:149], s[2:3], v[204:205]
	v_add_f64 v[192:193], v[202:203], v[192:193]
	v_add_f64 v[176:177], v[190:191], v[176:177]
	v_mul_f64 v[190:191], v[126:127], s[14:15]
	v_mul_f64 v[202:203], v[166:167], s[42:43]
	v_fma_f64 v[188:189], v[112:113], s[40:41], v[188:189]
	v_add_f64 v[186:187], v[4:5], v[186:187]
	v_add_f64 v[200:201], v[206:207], v[200:201]
	v_fma_f64 v[206:207], v[110:111], s[28:29], v[196:197]
	v_add_f64 v[192:193], v[208:209], v[192:193]
	v_fma_f64 v[184:185], v[150:151], s[16:17], -v[184:185]
	v_mul_f64 v[208:209], v[122:123], s[8:9]
	v_fma_f64 v[214:215], v[146:147], s[12:13], v[202:203]
	v_fma_f64 v[194:195], v[114:115], s[22:23], v[194:195]
	v_add_f64 v[186:187], v[188:189], v[186:187]
	v_add_f64 v[200:201], v[210:211], v[200:201]
	v_fma_f64 v[210:211], v[106:107], s[20:21], v[190:191]
	v_add_f64 v[192:193], v[206:207], v[192:193]
	v_fma_f64 v[198:199], v[152:153], s[6:7], -v[198:199]
	v_add_f64 v[184:185], v[0:1], v[184:185]
	v_mul_f64 v[206:207], v[116:117], s[0:1]
	v_mul_f64 v[188:189], v[156:157], s[18:19]
	v_fma_f64 v[196:197], v[110:111], s[42:43], v[196:197]
	v_add_f64 v[200:201], v[214:215], v[200:201]
	v_fma_f64 v[214:215], v[102:103], s[46:47], v[208:209]
	v_add_f64 v[192:193], v[210:211], v[192:193]
	v_add_f64 v[186:187], v[194:195], v[186:187]
	v_fma_f64 v[204:205], v[148:149], s[2:3], -v[204:205]
	v_add_f64 v[184:185], v[198:199], v[184:185]
	v_mul_f64 v[194:195], v[142:143], s[24:25]
	v_fma_f64 v[218:219], v[140:141], s[8:9], v[188:189]
	v_add_f64 v[200:201], v[216:217], v[200:201]
	v_fma_f64 v[216:217], v[94:95], s[44:45], v[206:207]
	v_add_f64 v[192:193], v[214:215], v[192:193]
	v_add_f64 v[178:179], v[178:179], v[176:177]
	v_fma_f64 v[176:177], v[106:107], s[50:51], v[190:191]
	v_add_f64 v[186:187], v[196:197], v[186:187]
	v_fma_f64 v[202:203], v[146:147], s[12:13], -v[202:203]
	v_add_f64 v[184:185], v[204:205], v[184:185]
	v_fma_f64 v[196:197], v[124:125], s[0:1], v[194:195]
	v_add_f64 v[200:201], v[218:219], v[200:201]
	v_add_f64 v[192:193], v[216:217], v[192:193]
	v_fma_f64 v[208:209], v[102:103], s[18:19], v[208:209]
	v_mul_f64 v[216:217], v[172:173], s[14:15]
	v_add_f64 v[176:177], v[176:177], v[186:187]
	v_mul_f64 v[218:219], v[158:159], s[20:21]
	v_fma_f64 v[212:213], v[144:145], s[14:15], -v[212:213]
	v_add_f64 v[184:185], v[202:203], v[184:185]
	v_add_f64 v[196:197], v[196:197], v[200:201]
	v_fma_f64 v[200:201], v[94:95], s[24:25], v[206:207]
	v_mul_f64 v[206:207], v[170:171], s[0:1]
	v_fma_f64 v[220:221], v[120:121], s[50:51], v[216:217]
	v_add_f64 v[176:177], v[208:209], v[176:177]
	v_mul_f64 v[208:209], v[154:155], s[24:25]
	v_fma_f64 v[222:223], v[150:151], s[14:15], v[218:219]
	v_fma_f64 v[188:189], v[140:141], s[8:9], -v[188:189]
	v_add_f64 v[184:185], v[212:213], v[184:185]
	v_mul_f64 v[210:211], v[92:93], s[4:5]
	v_mul_f64 v[190:191], v[138:139], s[38:39]
	v_fma_f64 v[226:227], v[112:113], s[44:45], v[206:207]
	v_add_f64 v[220:221], v[4:5], v[220:221]
	v_fma_f64 v[230:231], v[152:153], s[0:1], v[208:209]
	v_add_f64 v[222:223], v[0:1], v[222:223]
	v_fma_f64 v[194:195], v[124:125], s[0:1], -v[194:195]
	v_add_f64 v[184:185], v[188:189], v[184:185]
	v_add_f64 v[134:135], v[4:5], v[134:135]
	;; [unrolled: 1-line block ×3, first 2 shown]
	v_fma_f64 v[214:215], v[90:91], s[30:31], v[210:211]
	v_fma_f64 v[186:187], v[108:109], s[4:5], v[190:191]
	v_add_f64 v[220:221], v[226:227], v[220:221]
	v_mul_f64 v[226:227], v[166:167], s[34:35]
	v_fma_f64 v[234:235], v[148:149], s[6:7], v[228:229]
	v_add_f64 v[222:223], v[230:231], v[222:223]
	v_mul_f64 v[204:205], v[126:127], s[4:5]
	v_fma_f64 v[210:211], v[90:91], s[38:39], v[210:211]
	v_add_f64 v[200:201], v[200:201], v[176:177]
	v_fma_f64 v[190:191], v[108:109], s[4:5], -v[190:191]
	v_add_f64 v[194:195], v[194:195], v[184:185]
	v_mul_f64 v[172:173], v[172:173], s[8:9]
	v_add_f64 v[130:131], v[130:131], v[134:135]
	v_add_f64 v[132:133], v[132:133], v[136:137]
	v_fma_f64 v[236:237], v[146:147], s[2:3], v[226:227]
	v_add_f64 v[222:223], v[234:235], v[222:223]
	v_mul_f64 v[202:203], v[122:123], s[12:13]
	v_fma_f64 v[234:235], v[106:107], s[38:39], v[204:205]
	v_add_f64 v[176:177], v[182:183], v[174:175]
	v_add_f64 v[184:185], v[210:211], v[200:201]
	;; [unrolled: 1-line block ×3, first 2 shown]
	v_fma_f64 v[190:191], v[120:121], s[20:21], v[216:217]
	v_fma_f64 v[194:195], v[150:151], s[14:15], -v[218:219]
	v_fma_f64 v[200:201], v[106:107], s[30:31], v[204:205]
	v_mul_f64 v[170:171], v[170:171], s[14:15]
	v_fma_f64 v[204:205], v[120:121], s[46:47], v[172:173]
	v_add_f64 v[118:119], v[118:119], v[130:131]
	v_add_f64 v[128:129], v[128:129], v[132:133]
	v_mul_f64 v[224:225], v[168:169], s[6:7]
	v_add_f64 v[222:223], v[236:237], v[222:223]
	v_fma_f64 v[236:237], v[102:103], s[28:29], v[202:203]
	v_add_f64 v[174:175], v[180:181], v[178:179]
	v_add_f64 v[178:179], v[186:187], v[196:197]
	v_fma_f64 v[196:197], v[102:103], s[42:43], v[202:203]
	v_fma_f64 v[202:203], v[112:113], s[24:25], v[206:207]
	v_add_f64 v[190:191], v[4:5], v[190:191]
	v_fma_f64 v[206:207], v[152:153], s[0:1], -v[208:209]
	v_add_f64 v[194:195], v[0:1], v[194:195]
	v_mul_f64 v[168:169], v[168:169], s[16:17]
	v_fma_f64 v[210:211], v[112:113], s[50:51], v[170:171]
	v_add_f64 v[204:205], v[4:5], v[204:205]
	v_add_f64 v[100:101], v[100:101], v[118:119]
	;; [unrolled: 1-line block ×3, first 2 shown]
	v_mul_f64 v[198:199], v[162:163], s[2:3]
	v_fma_f64 v[232:233], v[114:115], s[36:37], v[224:225]
	v_fma_f64 v[208:209], v[114:115], s[40:41], v[224:225]
	v_add_f64 v[190:191], v[202:203], v[190:191]
	v_fma_f64 v[202:203], v[148:149], s[6:7], -v[228:229]
	v_add_f64 v[194:195], v[206:207], v[194:195]
	v_mul_f64 v[162:163], v[162:163], s[0:1]
	v_fma_f64 v[206:207], v[114:115], s[48:49], v[168:169]
	v_add_f64 v[204:205], v[210:211], v[204:205]
	v_add_f64 v[86:87], v[86:87], v[100:101]
	;; [unrolled: 1-line block ×3, first 2 shown]
	v_fma_f64 v[230:231], v[110:111], s[22:23], v[198:199]
	v_add_f64 v[220:221], v[232:233], v[220:221]
	v_mul_f64 v[232:233], v[164:165], s[30:31]
	v_fma_f64 v[198:199], v[110:111], s[34:35], v[198:199]
	v_add_f64 v[190:191], v[208:209], v[190:191]
	v_fma_f64 v[208:209], v[146:147], s[2:3], -v[226:227]
	v_add_f64 v[194:195], v[202:203], v[194:195]
	v_mul_f64 v[126:127], v[126:127], s[12:13]
	v_fma_f64 v[202:203], v[110:111], s[44:45], v[162:163]
	v_add_f64 v[134:135], v[206:207], v[204:205]
	v_add_f64 v[82:83], v[82:83], v[86:87]
	;; [unrolled: 1-line block ×4, first 2 shown]
	v_mul_f64 v[230:231], v[156:157], s[42:43]
	v_add_f64 v[136:137], v[198:199], v[190:191]
	v_fma_f64 v[190:191], v[144:145], s[4:5], -v[232:233]
	v_add_f64 v[194:195], v[208:209], v[194:195]
	v_mul_f64 v[122:123], v[122:123], s[6:7]
	v_fma_f64 v[198:199], v[106:107], s[42:43], v[126:127]
	v_add_f64 v[130:131], v[202:203], v[134:135]
	v_mul_f64 v[88:89], v[158:159], s[18:19]
	v_add_f64 v[78:79], v[78:79], v[82:83]
	v_add_f64 v[80:81], v[80:81], v[84:85]
	v_mul_f64 v[212:213], v[116:117], s[16:17]
	v_add_f64 v[132:133], v[200:201], v[136:137]
	v_fma_f64 v[134:135], v[140:141], s[12:13], -v[230:231]
	v_add_f64 v[136:137], v[190:191], v[194:195]
	v_mul_f64 v[116:117], v[116:117], s[4:5]
	v_fma_f64 v[190:191], v[102:103], s[36:37], v[122:123]
	v_add_f64 v[118:119], v[198:199], v[130:131]
	v_mul_f64 v[82:83], v[154:155], s[20:21]
	v_fma_f64 v[84:85], v[150:151], s[8:9], v[88:89]
	v_fma_f64 v[88:89], v[150:151], s[8:9], -v[88:89]
	v_fma_f64 v[120:121], v[120:121], s[18:19], v[172:173]
	v_add_f64 v[72:73], v[72:73], v[78:79]
	v_add_f64 v[74:75], v[74:75], v[80:81]
	;; [unrolled: 1-line block ×4, first 2 shown]
	v_fma_f64 v[134:135], v[94:95], s[30:31], v[116:117]
	v_add_f64 v[100:101], v[190:191], v[118:119]
	v_mul_f64 v[154:155], v[160:161], s[26:27]
	v_fma_f64 v[78:79], v[152:153], s[14:15], v[82:83]
	v_add_f64 v[80:81], v[0:1], v[84:85]
	v_fma_f64 v[82:83], v[152:153], s[14:15], -v[82:83]
	v_add_f64 v[0:1], v[0:1], v[88:89]
	v_fma_f64 v[84:85], v[112:113], s[20:21], v[170:171]
	v_add_f64 v[4:5], v[4:5], v[120:121]
	v_add_f64 v[66:67], v[66:67], v[72:73]
	;; [unrolled: 1-line block ×4, first 2 shown]
	v_mul_f64 v[234:235], v[142:143], s[48:49]
	v_add_f64 v[86:87], v[134:135], v[100:101]
	v_mul_f64 v[134:135], v[142:143], s[38:39]
	v_mul_f64 v[142:143], v[166:167], s[24:25]
	v_fma_f64 v[72:73], v[148:149], s[16:17], v[154:155]
	v_add_f64 v[74:75], v[78:79], v[80:81]
	v_fma_f64 v[80:81], v[148:149], s[16:17], -v[154:155]
	v_add_f64 v[0:1], v[82:83], v[0:1]
	v_fma_f64 v[78:79], v[114:115], s[26:27], v[168:169]
	v_add_f64 v[4:5], v[84:85], v[4:5]
	v_add_f64 v[62:63], v[62:63], v[66:67]
	;; [unrolled: 1-line block ×4, first 2 shown]
	v_mul_f64 v[236:237], v[138:139], s[46:47]
	v_mul_f64 v[100:101], v[138:139], s[34:35]
	;; [unrolled: 1-line block ×3, first 2 shown]
	v_fma_f64 v[66:67], v[146:147], s[0:1], v[142:143]
	v_add_f64 v[68:69], v[72:73], v[74:75]
	v_fma_f64 v[74:75], v[146:147], s[0:1], -v[142:143]
	v_add_f64 v[0:1], v[80:81], v[0:1]
	v_fma_f64 v[72:73], v[110:111], s[24:25], v[162:163]
	v_add_f64 v[4:5], v[78:79], v[4:5]
	v_add_f64 v[56:57], v[56:57], v[62:63]
	;; [unrolled: 1-line block ×3, first 2 shown]
	v_mul_f64 v[136:137], v[156:157], s[40:41]
	v_fma_f64 v[62:63], v[144:145], s[12:13], v[138:139]
	v_add_f64 v[64:65], v[66:67], v[68:69]
	v_fma_f64 v[68:69], v[144:145], s[12:13], -v[138:139]
	v_add_f64 v[0:1], v[74:75], v[0:1]
	v_fma_f64 v[66:67], v[106:107], s[28:29], v[126:127]
	v_add_f64 v[4:5], v[72:73], v[4:5]
	v_add_f64 v[52:53], v[52:53], v[56:57]
	v_add_f64 v[54:55], v[54:55], v[58:59]
	v_fma_f64 v[56:57], v[140:141], s[6:7], v[136:137]
	v_add_f64 v[58:59], v[62:63], v[64:65]
	v_fma_f64 v[64:65], v[140:141], s[6:7], -v[136:137]
	v_add_f64 v[0:1], v[68:69], v[0:1]
	v_fma_f64 v[238:239], v[144:145], s[4:5], v[232:233]
	v_fma_f64 v[62:63], v[102:103], s[40:41], v[122:123]
	v_add_f64 v[4:5], v[66:67], v[4:5]
	v_add_f64 v[48:49], v[48:49], v[52:53]
	;; [unrolled: 1-line block ×3, first 2 shown]
	v_fma_f64 v[52:53], v[124:125], s[4:5], v[134:135]
	v_add_f64 v[54:55], v[56:57], v[58:59]
	v_fma_f64 v[58:59], v[124:125], s[4:5], -v[134:135]
	v_add_f64 v[0:1], v[64:65], v[0:1]
	v_add_f64 v[222:223], v[238:239], v[222:223]
	v_mul_f64 v[238:239], v[92:93], s[8:9]
	v_mul_f64 v[92:93], v[92:93], s[2:3]
	v_fma_f64 v[56:57], v[94:95], s[38:39], v[116:117]
	v_add_f64 v[4:5], v[62:63], v[4:5]
	v_add_f64 v[46:47], v[46:47], v[48:49]
	;; [unrolled: 1-line block ×4, first 2 shown]
	v_fma_f64 v[192:193], v[94:95], s[48:49], v[212:213]
	v_fma_f64 v[130:131], v[124:125], s[16:17], -v[234:235]
	v_fma_f64 v[240:241], v[140:141], s[12:13], v[230:231]
	v_fma_f64 v[50:51], v[108:109], s[2:3], v[100:101]
	v_add_f64 v[54:55], v[52:53], v[54:55]
	v_fma_f64 v[64:65], v[108:109], s[2:3], -v[100:101]
	v_add_f64 v[0:1], v[58:59], v[0:1]
	v_fma_f64 v[62:63], v[90:91], s[34:35], v[92:93]
	v_add_f64 v[4:5], v[56:57], v[4:5]
	v_add_f64 v[58:59], v[60:61], v[46:47]
	;; [unrolled: 1-line block ×3, first 2 shown]
	v_fma_f64 v[104:105], v[90:91], s[46:47], v[238:239]
	v_add_f64 v[118:119], v[192:193], v[128:129]
	v_fma_f64 v[128:129], v[108:109], s[8:9], -v[236:237]
	v_add_f64 v[130:131], v[130:131], v[132:133]
	v_fma_f64 v[188:189], v[94:95], s[26:27], v[212:213]
	v_fma_f64 v[242:243], v[124:125], s[16:17], v[234:235]
	v_add_f64 v[222:223], v[240:241], v[222:223]
	v_add_f64 v[50:51], v[50:51], v[54:55]
	;; [unrolled: 1-line block ×3, first 2 shown]
	v_lshlrev_b64 v[0:1], 4, v[42:43]
	v_add_f64 v[56:57], v[62:63], v[4:5]
	v_add_f64 v[4:5], v[44:45], v[58:59]
	;; [unrolled: 1-line block ×3, first 2 shown]
	v_mov_b32_e32 v42, s11
	v_add_co_u32_e32 v43, vcc, s10, v0
	v_addc_co_u32_e32 v42, vcc, v42, v1, vcc
	v_lshlrev_b64 v[0:1], 4, v[96:97]
	v_fma_f64 v[132:133], v[90:91], s[22:23], v[92:93]
	v_add_f64 v[48:49], v[104:105], v[118:119]
	v_add_f64 v[46:47], v[128:129], v[130:131]
	v_add_co_u32_e32 v43, vcc, v43, v0
	v_fma_f64 v[240:241], v[90:91], s[18:19], v[238:239]
	v_add_f64 v[188:189], v[188:189], v[220:221]
	v_fma_f64 v[220:221], v[108:109], s[8:9], v[236:237]
	v_add_f64 v[222:223], v[242:243], v[222:223]
	v_addc_co_u32_e32 v42, vcc, v42, v1, vcc
	v_lshlrev_b64 v[0:1], 4, v[98:99]
	v_add_f64 v[52:53], v[132:133], v[86:87]
	v_add_co_u32_e32 v0, vcc, v43, v0
	v_addc_co_u32_e32 v1, vcc, v42, v1, vcc
	global_store_dwordx4 v[0:1], v[2:5], off
	global_store_dwordx4 v[0:1], v[54:57], off offset:1360
	global_store_dwordx4 v[0:1], v[46:49], off offset:2720
	;; [unrolled: 1-line block ×3, first 2 shown]
	v_add_co_u32_e32 v2, vcc, s52, v0
	v_addc_co_u32_e32 v3, vcc, 0, v1, vcc
	global_store_dwordx4 v[2:3], v[174:177], off offset:1344
	global_store_dwordx4 v[2:3], v[34:37], off offset:2704
	;; [unrolled: 1-line block ×3, first 2 shown]
	v_add_co_u32_e32 v2, vcc, s33, v0
	v_addc_co_u32_e32 v3, vcc, 0, v1, vcc
	s_movk_i32 s0, 0x3000
	v_add_f64 v[188:189], v[240:241], v[188:189]
	v_add_f64 v[186:187], v[220:221], v[222:223]
	global_store_dwordx4 v[2:3], v[22:25], off offset:1328
	global_store_dwordx4 v[2:3], v[14:17], off offset:2688
	;; [unrolled: 1-line block ×3, first 2 shown]
	v_add_co_u32_e32 v2, vcc, s0, v0
	v_addc_co_u32_e32 v3, vcc, 0, v1, vcc
	s_movk_i32 s0, 0x4000
	global_store_dwordx4 v[2:3], v[10:13], off offset:1312
	global_store_dwordx4 v[2:3], v[18:21], off offset:2672
	;; [unrolled: 1-line block ×3, first 2 shown]
	v_add_co_u32_e32 v2, vcc, s0, v0
	v_addc_co_u32_e32 v3, vcc, 0, v1, vcc
	v_add_co_u32_e32 v0, vcc, 0x5000, v0
	v_addc_co_u32_e32 v1, vcc, 0, v1, vcc
	global_store_dwordx4 v[2:3], v[38:41], off offset:1296
	global_store_dwordx4 v[2:3], v[178:181], off offset:2656
	;; [unrolled: 1-line block ×4, first 2 shown]
.LBB0_23:
	s_endpgm
	.section	.rodata,"a",@progbits
	.p2align	6, 0x0
	.amdhsa_kernel fft_rtc_fwd_len1445_factors_17_5_17_wgs_85_tpt_85_halfLds_dp_op_CI_CI_unitstride_sbrr_dirReg
		.amdhsa_group_segment_fixed_size 0
		.amdhsa_private_segment_fixed_size 0
		.amdhsa_kernarg_size 104
		.amdhsa_user_sgpr_count 6
		.amdhsa_user_sgpr_private_segment_buffer 1
		.amdhsa_user_sgpr_dispatch_ptr 0
		.amdhsa_user_sgpr_queue_ptr 0
		.amdhsa_user_sgpr_kernarg_segment_ptr 1
		.amdhsa_user_sgpr_dispatch_id 0
		.amdhsa_user_sgpr_flat_scratch_init 0
		.amdhsa_user_sgpr_private_segment_size 0
		.amdhsa_uses_dynamic_stack 0
		.amdhsa_system_sgpr_private_segment_wavefront_offset 0
		.amdhsa_system_sgpr_workgroup_id_x 1
		.amdhsa_system_sgpr_workgroup_id_y 0
		.amdhsa_system_sgpr_workgroup_id_z 0
		.amdhsa_system_sgpr_workgroup_info 0
		.amdhsa_system_vgpr_workitem_id 0
		.amdhsa_next_free_vgpr 244
		.amdhsa_next_free_sgpr 60
		.amdhsa_reserve_vcc 1
		.amdhsa_reserve_flat_scratch 0
		.amdhsa_float_round_mode_32 0
		.amdhsa_float_round_mode_16_64 0
		.amdhsa_float_denorm_mode_32 3
		.amdhsa_float_denorm_mode_16_64 3
		.amdhsa_dx10_clamp 1
		.amdhsa_ieee_mode 1
		.amdhsa_fp16_overflow 0
		.amdhsa_exception_fp_ieee_invalid_op 0
		.amdhsa_exception_fp_denorm_src 0
		.amdhsa_exception_fp_ieee_div_zero 0
		.amdhsa_exception_fp_ieee_overflow 0
		.amdhsa_exception_fp_ieee_underflow 0
		.amdhsa_exception_fp_ieee_inexact 0
		.amdhsa_exception_int_div_zero 0
	.end_amdhsa_kernel
	.text
.Lfunc_end0:
	.size	fft_rtc_fwd_len1445_factors_17_5_17_wgs_85_tpt_85_halfLds_dp_op_CI_CI_unitstride_sbrr_dirReg, .Lfunc_end0-fft_rtc_fwd_len1445_factors_17_5_17_wgs_85_tpt_85_halfLds_dp_op_CI_CI_unitstride_sbrr_dirReg
                                        ; -- End function
	.section	.AMDGPU.csdata,"",@progbits
; Kernel info:
; codeLenInByte = 18336
; NumSgprs: 64
; NumVgprs: 244
; ScratchSize: 0
; MemoryBound: 1
; FloatMode: 240
; IeeeMode: 1
; LDSByteSize: 0 bytes/workgroup (compile time only)
; SGPRBlocks: 7
; VGPRBlocks: 60
; NumSGPRsForWavesPerEU: 64
; NumVGPRsForWavesPerEU: 244
; Occupancy: 1
; WaveLimiterHint : 1
; COMPUTE_PGM_RSRC2:SCRATCH_EN: 0
; COMPUTE_PGM_RSRC2:USER_SGPR: 6
; COMPUTE_PGM_RSRC2:TRAP_HANDLER: 0
; COMPUTE_PGM_RSRC2:TGID_X_EN: 1
; COMPUTE_PGM_RSRC2:TGID_Y_EN: 0
; COMPUTE_PGM_RSRC2:TGID_Z_EN: 0
; COMPUTE_PGM_RSRC2:TIDIG_COMP_CNT: 0
	.type	__hip_cuid_fc03d10d5b55501e,@object ; @__hip_cuid_fc03d10d5b55501e
	.section	.bss,"aw",@nobits
	.globl	__hip_cuid_fc03d10d5b55501e
__hip_cuid_fc03d10d5b55501e:
	.byte	0                               ; 0x0
	.size	__hip_cuid_fc03d10d5b55501e, 1

	.ident	"AMD clang version 19.0.0git (https://github.com/RadeonOpenCompute/llvm-project roc-6.4.0 25133 c7fe45cf4b819c5991fe208aaa96edf142730f1d)"
	.section	".note.GNU-stack","",@progbits
	.addrsig
	.addrsig_sym __hip_cuid_fc03d10d5b55501e
	.amdgpu_metadata
---
amdhsa.kernels:
  - .args:
      - .actual_access:  read_only
        .address_space:  global
        .offset:         0
        .size:           8
        .value_kind:     global_buffer
      - .offset:         8
        .size:           8
        .value_kind:     by_value
      - .actual_access:  read_only
        .address_space:  global
        .offset:         16
        .size:           8
        .value_kind:     global_buffer
      - .actual_access:  read_only
        .address_space:  global
        .offset:         24
        .size:           8
        .value_kind:     global_buffer
      - .actual_access:  read_only
        .address_space:  global
        .offset:         32
        .size:           8
        .value_kind:     global_buffer
      - .offset:         40
        .size:           8
        .value_kind:     by_value
      - .actual_access:  read_only
        .address_space:  global
        .offset:         48
        .size:           8
        .value_kind:     global_buffer
      - .actual_access:  read_only
        .address_space:  global
        .offset:         56
        .size:           8
        .value_kind:     global_buffer
      - .offset:         64
        .size:           4
        .value_kind:     by_value
      - .actual_access:  read_only
        .address_space:  global
        .offset:         72
        .size:           8
        .value_kind:     global_buffer
      - .actual_access:  read_only
        .address_space:  global
        .offset:         80
        .size:           8
        .value_kind:     global_buffer
      - .actual_access:  read_only
        .address_space:  global
        .offset:         88
        .size:           8
        .value_kind:     global_buffer
      - .actual_access:  write_only
        .address_space:  global
        .offset:         96
        .size:           8
        .value_kind:     global_buffer
    .group_segment_fixed_size: 0
    .kernarg_segment_align: 8
    .kernarg_segment_size: 104
    .language:       OpenCL C
    .language_version:
      - 2
      - 0
    .max_flat_workgroup_size: 85
    .name:           fft_rtc_fwd_len1445_factors_17_5_17_wgs_85_tpt_85_halfLds_dp_op_CI_CI_unitstride_sbrr_dirReg
    .private_segment_fixed_size: 0
    .sgpr_count:     64
    .sgpr_spill_count: 0
    .symbol:         fft_rtc_fwd_len1445_factors_17_5_17_wgs_85_tpt_85_halfLds_dp_op_CI_CI_unitstride_sbrr_dirReg.kd
    .uniform_work_group_size: 1
    .uses_dynamic_stack: false
    .vgpr_count:     244
    .vgpr_spill_count: 0
    .wavefront_size: 64
amdhsa.target:   amdgcn-amd-amdhsa--gfx906
amdhsa.version:
  - 1
  - 2
...

	.end_amdgpu_metadata
